;; amdgpu-corpus repo=ROCm/composable_kernel kind=compiled arch=gfx950 opt=O3
	.amdgcn_target "amdgcn-amd-amdhsa--gfx950"
	.amdhsa_code_object_version 6
	.section	.text._ZN2ckL12flush_icacheEv,"axG",@progbits,_ZN2ckL12flush_icacheEv,comdat
	.globl	_ZN2ckL12flush_icacheEv         ; -- Begin function _ZN2ckL12flush_icacheEv
	.p2align	8
	.type	_ZN2ckL12flush_icacheEv,@function
_ZN2ckL12flush_icacheEv:                ; @_ZN2ckL12flush_icacheEv
; %bb.0:
	;;#ASMSTART
	s_icache_inv 
	s_nop 0 
	s_nop 0 
	;; [unrolled: 1-line block ×16, first 2 shown]
	
	;;#ASMEND
	s_endpgm
	.section	.rodata,"a",@progbits
	.p2align	6, 0x0
	.amdhsa_kernel _ZN2ckL12flush_icacheEv
		.amdhsa_group_segment_fixed_size 0
		.amdhsa_private_segment_fixed_size 0
		.amdhsa_kernarg_size 0
		.amdhsa_user_sgpr_count 0
		.amdhsa_user_sgpr_dispatch_ptr 0
		.amdhsa_user_sgpr_queue_ptr 0
		.amdhsa_user_sgpr_kernarg_segment_ptr 0
		.amdhsa_user_sgpr_dispatch_id 0
		.amdhsa_user_sgpr_kernarg_preload_length 0
		.amdhsa_user_sgpr_kernarg_preload_offset 0
		.amdhsa_user_sgpr_private_segment_size 0
		.amdhsa_uses_dynamic_stack 0
		.amdhsa_enable_private_segment 0
		.amdhsa_system_sgpr_workgroup_id_x 1
		.amdhsa_system_sgpr_workgroup_id_y 0
		.amdhsa_system_sgpr_workgroup_id_z 0
		.amdhsa_system_sgpr_workgroup_info 0
		.amdhsa_system_vgpr_workitem_id 0
		.amdhsa_next_free_vgpr 1
		.amdhsa_next_free_sgpr 0
		.amdhsa_accum_offset 4
		.amdhsa_reserve_vcc 0
		.amdhsa_float_round_mode_32 0
		.amdhsa_float_round_mode_16_64 0
		.amdhsa_float_denorm_mode_32 3
		.amdhsa_float_denorm_mode_16_64 3
		.amdhsa_dx10_clamp 1
		.amdhsa_ieee_mode 1
		.amdhsa_fp16_overflow 0
		.amdhsa_tg_split 0
		.amdhsa_exception_fp_ieee_invalid_op 0
		.amdhsa_exception_fp_denorm_src 0
		.amdhsa_exception_fp_ieee_div_zero 0
		.amdhsa_exception_fp_ieee_overflow 0
		.amdhsa_exception_fp_ieee_underflow 0
		.amdhsa_exception_fp_ieee_inexact 0
		.amdhsa_exception_int_div_zero 0
	.end_amdhsa_kernel
	.section	.text._ZN2ckL12flush_icacheEv,"axG",@progbits,_ZN2ckL12flush_icacheEv,comdat
.Lfunc_end0:
	.size	_ZN2ckL12flush_icacheEv, .Lfunc_end0-_ZN2ckL12flush_icacheEv
                                        ; -- End function
	.set _ZN2ckL12flush_icacheEv.num_vgpr, 0
	.set _ZN2ckL12flush_icacheEv.num_agpr, 0
	.set _ZN2ckL12flush_icacheEv.numbered_sgpr, 0
	.set _ZN2ckL12flush_icacheEv.num_named_barrier, 0
	.set _ZN2ckL12flush_icacheEv.private_seg_size, 0
	.set _ZN2ckL12flush_icacheEv.uses_vcc, 0
	.set _ZN2ckL12flush_icacheEv.uses_flat_scratch, 0
	.set _ZN2ckL12flush_icacheEv.has_dyn_sized_stack, 0
	.set _ZN2ckL12flush_icacheEv.has_recursion, 0
	.set _ZN2ckL12flush_icacheEv.has_indirect_call, 0
	.section	.AMDGPU.csdata,"",@progbits
; Kernel info:
; codeLenInByte = 276
; TotalNumSgprs: 6
; NumVgprs: 0
; NumAgprs: 0
; TotalNumVgprs: 0
; ScratchSize: 0
; MemoryBound: 0
; FloatMode: 240
; IeeeMode: 1
; LDSByteSize: 0 bytes/workgroup (compile time only)
; SGPRBlocks: 0
; VGPRBlocks: 0
; NumSGPRsForWavesPerEU: 6
; NumVGPRsForWavesPerEU: 1
; AccumOffset: 4
; Occupancy: 8
; WaveLimiterHint : 0
; COMPUTE_PGM_RSRC2:SCRATCH_EN: 0
; COMPUTE_PGM_RSRC2:USER_SGPR: 0
; COMPUTE_PGM_RSRC2:TRAP_HANDLER: 0
; COMPUTE_PGM_RSRC2:TGID_X_EN: 1
; COMPUTE_PGM_RSRC2:TGID_Y_EN: 0
; COMPUTE_PGM_RSRC2:TGID_Z_EN: 0
; COMPUTE_PGM_RSRC2:TIDIG_COMP_CNT: 0
; COMPUTE_PGM_RSRC3_GFX90A:ACCUM_OFFSET: 0
; COMPUTE_PGM_RSRC3_GFX90A:TG_SPLIT: 0
	.section	.text._ZN2ck35kernel_gemm_multiple_d_xdl_cshuffleINS_34GridwiseGemmMultipleD_xdl_cshuffleIfffffNS_5TupleIJffEEEfNS_16tensor_operation12element_wise11PassThroughES6_NS5_14AddAddFastGeluELi1ELi256ELi256ELi128ELi32ELi8ELi8ELi16ELi16ELi8ELi4ENS_8SequenceIJLi4ELi64ELi1EEEENS8_IJLi1ELi0ELi2EEEESA_Li2ELi4ELi4ELb0ELi1ES9_SA_SA_Li2ELi4ELi4ELb0ELi1ELi1ELi1ENS8_IJLi1ELi32ELi1ELi8EEEELi2ELNS_13LoopSchedulerE0ELNS_15PipelineVersionE0EfLb0EEEffNS2_IJPKfSG_EEEfS6_S6_S7_NS_16TensorDescriptorINS2_IJNS_5EmbedINS2_IJiiEEENS2_IJiNS_17integral_constantIiLi1EEEEEELb0EEENS_11PassThroughIiEESQ_NS_7UnMergeINS2_IJiNSL_IiLi8EEEEEELb0EEESQ_EEENS2_IJNS8_IJLi0EEEENS8_IJLi1EEEENS8_IJLi2EEEENS8_IJLi4EEEENS8_IJLi3EEEEEEENS2_IJNS8_IJLi1ELi2EEEES10_SZ_NS8_IJLi5ELi6EEEENS8_IJLi7EEEEEEENS8_IJLi5ELi7ELi6EEEElEES17_NS2_IJNSI_INS2_IJSO_SQ_SQ_NSR_INS2_IJiNSL_IiLi256EEEEEELb0EEENSR_INS2_IJiNSL_IiLi128EEEEEELb0EEEEEENS2_IJSW_SX_SY_S10_SZ_EEENS2_IJS12_S10_SZ_S13_NS8_IJLi7ELi8EEEEEEENS8_IJLi5ELi6ELi7ELi8EEEElEES1J_EEES1J_NS_31BlockToCTileMap_M00_N0_M01AdaptILi256ELi128ENSI_INS2_IJSO_SQ_SQ_EEENS2_IJSW_SX_SY_EEENS2_IJS12_S10_SZ_EEENS8_IJLi3ELi4EEEElEEiEELb1EEEvPKT0_PKT1_T2_PT3_T4_T5_T6_T7_T8_T9_T10_T11_,"axG",@progbits,_ZN2ck35kernel_gemm_multiple_d_xdl_cshuffleINS_34GridwiseGemmMultipleD_xdl_cshuffleIfffffNS_5TupleIJffEEEfNS_16tensor_operation12element_wise11PassThroughES6_NS5_14AddAddFastGeluELi1ELi256ELi256ELi128ELi32ELi8ELi8ELi16ELi16ELi8ELi4ENS_8SequenceIJLi4ELi64ELi1EEEENS8_IJLi1ELi0ELi2EEEESA_Li2ELi4ELi4ELb0ELi1ES9_SA_SA_Li2ELi4ELi4ELb0ELi1ELi1ELi1ENS8_IJLi1ELi32ELi1ELi8EEEELi2ELNS_13LoopSchedulerE0ELNS_15PipelineVersionE0EfLb0EEEffNS2_IJPKfSG_EEEfS6_S6_S7_NS_16TensorDescriptorINS2_IJNS_5EmbedINS2_IJiiEEENS2_IJiNS_17integral_constantIiLi1EEEEEELb0EEENS_11PassThroughIiEESQ_NS_7UnMergeINS2_IJiNSL_IiLi8EEEEEELb0EEESQ_EEENS2_IJNS8_IJLi0EEEENS8_IJLi1EEEENS8_IJLi2EEEENS8_IJLi4EEEENS8_IJLi3EEEEEEENS2_IJNS8_IJLi1ELi2EEEES10_SZ_NS8_IJLi5ELi6EEEENS8_IJLi7EEEEEEENS8_IJLi5ELi7ELi6EEEElEES17_NS2_IJNSI_INS2_IJSO_SQ_SQ_NSR_INS2_IJiNSL_IiLi256EEEEEELb0EEENSR_INS2_IJiNSL_IiLi128EEEEEELb0EEEEEENS2_IJSW_SX_SY_S10_SZ_EEENS2_IJS12_S10_SZ_S13_NS8_IJLi7ELi8EEEEEEENS8_IJLi5ELi6ELi7ELi8EEEElEES1J_EEES1J_NS_31BlockToCTileMap_M00_N0_M01AdaptILi256ELi128ENSI_INS2_IJSO_SQ_SQ_EEENS2_IJSW_SX_SY_EEENS2_IJS12_S10_SZ_EEENS8_IJLi3ELi4EEEElEEiEELb1EEEvPKT0_PKT1_T2_PT3_T4_T5_T6_T7_T8_T9_T10_T11_,comdat
	.protected	_ZN2ck35kernel_gemm_multiple_d_xdl_cshuffleINS_34GridwiseGemmMultipleD_xdl_cshuffleIfffffNS_5TupleIJffEEEfNS_16tensor_operation12element_wise11PassThroughES6_NS5_14AddAddFastGeluELi1ELi256ELi256ELi128ELi32ELi8ELi8ELi16ELi16ELi8ELi4ENS_8SequenceIJLi4ELi64ELi1EEEENS8_IJLi1ELi0ELi2EEEESA_Li2ELi4ELi4ELb0ELi1ES9_SA_SA_Li2ELi4ELi4ELb0ELi1ELi1ELi1ENS8_IJLi1ELi32ELi1ELi8EEEELi2ELNS_13LoopSchedulerE0ELNS_15PipelineVersionE0EfLb0EEEffNS2_IJPKfSG_EEEfS6_S6_S7_NS_16TensorDescriptorINS2_IJNS_5EmbedINS2_IJiiEEENS2_IJiNS_17integral_constantIiLi1EEEEEELb0EEENS_11PassThroughIiEESQ_NS_7UnMergeINS2_IJiNSL_IiLi8EEEEEELb0EEESQ_EEENS2_IJNS8_IJLi0EEEENS8_IJLi1EEEENS8_IJLi2EEEENS8_IJLi4EEEENS8_IJLi3EEEEEEENS2_IJNS8_IJLi1ELi2EEEES10_SZ_NS8_IJLi5ELi6EEEENS8_IJLi7EEEEEEENS8_IJLi5ELi7ELi6EEEElEES17_NS2_IJNSI_INS2_IJSO_SQ_SQ_NSR_INS2_IJiNSL_IiLi256EEEEEELb0EEENSR_INS2_IJiNSL_IiLi128EEEEEELb0EEEEEENS2_IJSW_SX_SY_S10_SZ_EEENS2_IJS12_S10_SZ_S13_NS8_IJLi7ELi8EEEEEEENS8_IJLi5ELi6ELi7ELi8EEEElEES1J_EEES1J_NS_31BlockToCTileMap_M00_N0_M01AdaptILi256ELi128ENSI_INS2_IJSO_SQ_SQ_EEENS2_IJSW_SX_SY_EEENS2_IJS12_S10_SZ_EEENS8_IJLi3ELi4EEEElEEiEELb1EEEvPKT0_PKT1_T2_PT3_T4_T5_T6_T7_T8_T9_T10_T11_ ; -- Begin function _ZN2ck35kernel_gemm_multiple_d_xdl_cshuffleINS_34GridwiseGemmMultipleD_xdl_cshuffleIfffffNS_5TupleIJffEEEfNS_16tensor_operation12element_wise11PassThroughES6_NS5_14AddAddFastGeluELi1ELi256ELi256ELi128ELi32ELi8ELi8ELi16ELi16ELi8ELi4ENS_8SequenceIJLi4ELi64ELi1EEEENS8_IJLi1ELi0ELi2EEEESA_Li2ELi4ELi4ELb0ELi1ES9_SA_SA_Li2ELi4ELi4ELb0ELi1ELi1ELi1ENS8_IJLi1ELi32ELi1ELi8EEEELi2ELNS_13LoopSchedulerE0ELNS_15PipelineVersionE0EfLb0EEEffNS2_IJPKfSG_EEEfS6_S6_S7_NS_16TensorDescriptorINS2_IJNS_5EmbedINS2_IJiiEEENS2_IJiNS_17integral_constantIiLi1EEEEEELb0EEENS_11PassThroughIiEESQ_NS_7UnMergeINS2_IJiNSL_IiLi8EEEEEELb0EEESQ_EEENS2_IJNS8_IJLi0EEEENS8_IJLi1EEEENS8_IJLi2EEEENS8_IJLi4EEEENS8_IJLi3EEEEEEENS2_IJNS8_IJLi1ELi2EEEES10_SZ_NS8_IJLi5ELi6EEEENS8_IJLi7EEEEEEENS8_IJLi5ELi7ELi6EEEElEES17_NS2_IJNSI_INS2_IJSO_SQ_SQ_NSR_INS2_IJiNSL_IiLi256EEEEEELb0EEENSR_INS2_IJiNSL_IiLi128EEEEEELb0EEEEEENS2_IJSW_SX_SY_S10_SZ_EEENS2_IJS12_S10_SZ_S13_NS8_IJLi7ELi8EEEEEEENS8_IJLi5ELi6ELi7ELi8EEEElEES1J_EEES1J_NS_31BlockToCTileMap_M00_N0_M01AdaptILi256ELi128ENSI_INS2_IJSO_SQ_SQ_EEENS2_IJSW_SX_SY_EEENS2_IJS12_S10_SZ_EEENS8_IJLi3ELi4EEEElEEiEELb1EEEvPKT0_PKT1_T2_PT3_T4_T5_T6_T7_T8_T9_T10_T11_
	.globl	_ZN2ck35kernel_gemm_multiple_d_xdl_cshuffleINS_34GridwiseGemmMultipleD_xdl_cshuffleIfffffNS_5TupleIJffEEEfNS_16tensor_operation12element_wise11PassThroughES6_NS5_14AddAddFastGeluELi1ELi256ELi256ELi128ELi32ELi8ELi8ELi16ELi16ELi8ELi4ENS_8SequenceIJLi4ELi64ELi1EEEENS8_IJLi1ELi0ELi2EEEESA_Li2ELi4ELi4ELb0ELi1ES9_SA_SA_Li2ELi4ELi4ELb0ELi1ELi1ELi1ENS8_IJLi1ELi32ELi1ELi8EEEELi2ELNS_13LoopSchedulerE0ELNS_15PipelineVersionE0EfLb0EEEffNS2_IJPKfSG_EEEfS6_S6_S7_NS_16TensorDescriptorINS2_IJNS_5EmbedINS2_IJiiEEENS2_IJiNS_17integral_constantIiLi1EEEEEELb0EEENS_11PassThroughIiEESQ_NS_7UnMergeINS2_IJiNSL_IiLi8EEEEEELb0EEESQ_EEENS2_IJNS8_IJLi0EEEENS8_IJLi1EEEENS8_IJLi2EEEENS8_IJLi4EEEENS8_IJLi3EEEEEEENS2_IJNS8_IJLi1ELi2EEEES10_SZ_NS8_IJLi5ELi6EEEENS8_IJLi7EEEEEEENS8_IJLi5ELi7ELi6EEEElEES17_NS2_IJNSI_INS2_IJSO_SQ_SQ_NSR_INS2_IJiNSL_IiLi256EEEEEELb0EEENSR_INS2_IJiNSL_IiLi128EEEEEELb0EEEEEENS2_IJSW_SX_SY_S10_SZ_EEENS2_IJS12_S10_SZ_S13_NS8_IJLi7ELi8EEEEEEENS8_IJLi5ELi6ELi7ELi8EEEElEES1J_EEES1J_NS_31BlockToCTileMap_M00_N0_M01AdaptILi256ELi128ENSI_INS2_IJSO_SQ_SQ_EEENS2_IJSW_SX_SY_EEENS2_IJS12_S10_SZ_EEENS8_IJLi3ELi4EEEElEEiEELb1EEEvPKT0_PKT1_T2_PT3_T4_T5_T6_T7_T8_T9_T10_T11_
	.p2align	8
	.type	_ZN2ck35kernel_gemm_multiple_d_xdl_cshuffleINS_34GridwiseGemmMultipleD_xdl_cshuffleIfffffNS_5TupleIJffEEEfNS_16tensor_operation12element_wise11PassThroughES6_NS5_14AddAddFastGeluELi1ELi256ELi256ELi128ELi32ELi8ELi8ELi16ELi16ELi8ELi4ENS_8SequenceIJLi4ELi64ELi1EEEENS8_IJLi1ELi0ELi2EEEESA_Li2ELi4ELi4ELb0ELi1ES9_SA_SA_Li2ELi4ELi4ELb0ELi1ELi1ELi1ENS8_IJLi1ELi32ELi1ELi8EEEELi2ELNS_13LoopSchedulerE0ELNS_15PipelineVersionE0EfLb0EEEffNS2_IJPKfSG_EEEfS6_S6_S7_NS_16TensorDescriptorINS2_IJNS_5EmbedINS2_IJiiEEENS2_IJiNS_17integral_constantIiLi1EEEEEELb0EEENS_11PassThroughIiEESQ_NS_7UnMergeINS2_IJiNSL_IiLi8EEEEEELb0EEESQ_EEENS2_IJNS8_IJLi0EEEENS8_IJLi1EEEENS8_IJLi2EEEENS8_IJLi4EEEENS8_IJLi3EEEEEEENS2_IJNS8_IJLi1ELi2EEEES10_SZ_NS8_IJLi5ELi6EEEENS8_IJLi7EEEEEEENS8_IJLi5ELi7ELi6EEEElEES17_NS2_IJNSI_INS2_IJSO_SQ_SQ_NSR_INS2_IJiNSL_IiLi256EEEEEELb0EEENSR_INS2_IJiNSL_IiLi128EEEEEELb0EEEEEENS2_IJSW_SX_SY_S10_SZ_EEENS2_IJS12_S10_SZ_S13_NS8_IJLi7ELi8EEEEEEENS8_IJLi5ELi6ELi7ELi8EEEElEES1J_EEES1J_NS_31BlockToCTileMap_M00_N0_M01AdaptILi256ELi128ENSI_INS2_IJSO_SQ_SQ_EEENS2_IJSW_SX_SY_EEENS2_IJS12_S10_SZ_EEENS8_IJLi3ELi4EEEElEEiEELb1EEEvPKT0_PKT1_T2_PT3_T4_T5_T6_T7_T8_T9_T10_T11_,@function
_ZN2ck35kernel_gemm_multiple_d_xdl_cshuffleINS_34GridwiseGemmMultipleD_xdl_cshuffleIfffffNS_5TupleIJffEEEfNS_16tensor_operation12element_wise11PassThroughES6_NS5_14AddAddFastGeluELi1ELi256ELi256ELi128ELi32ELi8ELi8ELi16ELi16ELi8ELi4ENS_8SequenceIJLi4ELi64ELi1EEEENS8_IJLi1ELi0ELi2EEEESA_Li2ELi4ELi4ELb0ELi1ES9_SA_SA_Li2ELi4ELi4ELb0ELi1ELi1ELi1ENS8_IJLi1ELi32ELi1ELi8EEEELi2ELNS_13LoopSchedulerE0ELNS_15PipelineVersionE0EfLb0EEEffNS2_IJPKfSG_EEEfS6_S6_S7_NS_16TensorDescriptorINS2_IJNS_5EmbedINS2_IJiiEEENS2_IJiNS_17integral_constantIiLi1EEEEEELb0EEENS_11PassThroughIiEESQ_NS_7UnMergeINS2_IJiNSL_IiLi8EEEEEELb0EEESQ_EEENS2_IJNS8_IJLi0EEEENS8_IJLi1EEEENS8_IJLi2EEEENS8_IJLi4EEEENS8_IJLi3EEEEEEENS2_IJNS8_IJLi1ELi2EEEES10_SZ_NS8_IJLi5ELi6EEEENS8_IJLi7EEEEEEENS8_IJLi5ELi7ELi6EEEElEES17_NS2_IJNSI_INS2_IJSO_SQ_SQ_NSR_INS2_IJiNSL_IiLi256EEEEEELb0EEENSR_INS2_IJiNSL_IiLi128EEEEEELb0EEEEEENS2_IJSW_SX_SY_S10_SZ_EEENS2_IJS12_S10_SZ_S13_NS8_IJLi7ELi8EEEEEEENS8_IJLi5ELi6ELi7ELi8EEEElEES1J_EEES1J_NS_31BlockToCTileMap_M00_N0_M01AdaptILi256ELi128ENSI_INS2_IJSO_SQ_SQ_EEENS2_IJSW_SX_SY_EEENS2_IJS12_S10_SZ_EEENS8_IJLi3ELi4EEEElEEiEELb1EEEvPKT0_PKT1_T2_PT3_T4_T5_T6_T7_T8_T9_T10_T11_: ; @_ZN2ck35kernel_gemm_multiple_d_xdl_cshuffleINS_34GridwiseGemmMultipleD_xdl_cshuffleIfffffNS_5TupleIJffEEEfNS_16tensor_operation12element_wise11PassThroughES6_NS5_14AddAddFastGeluELi1ELi256ELi256ELi128ELi32ELi8ELi8ELi16ELi16ELi8ELi4ENS_8SequenceIJLi4ELi64ELi1EEEENS8_IJLi1ELi0ELi2EEEESA_Li2ELi4ELi4ELb0ELi1ES9_SA_SA_Li2ELi4ELi4ELb0ELi1ELi1ELi1ENS8_IJLi1ELi32ELi1ELi8EEEELi2ELNS_13LoopSchedulerE0ELNS_15PipelineVersionE0EfLb0EEEffNS2_IJPKfSG_EEEfS6_S6_S7_NS_16TensorDescriptorINS2_IJNS_5EmbedINS2_IJiiEEENS2_IJiNS_17integral_constantIiLi1EEEEEELb0EEENS_11PassThroughIiEESQ_NS_7UnMergeINS2_IJiNSL_IiLi8EEEEEELb0EEESQ_EEENS2_IJNS8_IJLi0EEEENS8_IJLi1EEEENS8_IJLi2EEEENS8_IJLi4EEEENS8_IJLi3EEEEEEENS2_IJNS8_IJLi1ELi2EEEES10_SZ_NS8_IJLi5ELi6EEEENS8_IJLi7EEEEEEENS8_IJLi5ELi7ELi6EEEElEES17_NS2_IJNSI_INS2_IJSO_SQ_SQ_NSR_INS2_IJiNSL_IiLi256EEEEEELb0EEENSR_INS2_IJiNSL_IiLi128EEEEEELb0EEEEEENS2_IJSW_SX_SY_S10_SZ_EEENS2_IJS12_S10_SZ_S13_NS8_IJLi7ELi8EEEEEEENS8_IJLi5ELi6ELi7ELi8EEEElEES1J_EEES1J_NS_31BlockToCTileMap_M00_N0_M01AdaptILi256ELi128ENSI_INS2_IJSO_SQ_SQ_EEENS2_IJSW_SX_SY_EEENS2_IJS12_S10_SZ_EEENS8_IJLi3ELi4EEEElEEiEELb1EEEvPKT0_PKT1_T2_PT3_T4_T5_T6_T7_T8_T9_T10_T11_
; %bb.0:
	s_load_dwordx4 s[16:19], s[0:1], 0x158
	s_load_dword s3, s[0:1], 0x168
	v_and_b32_e32 v50, 0xfc, v0
	v_and_b32_e32 v51, 3, v0
	v_lshrrev_b32_e32 v2, 1, v0
	s_waitcnt lgkmcnt(0)
	s_add_i32 s5, s18, 0xff
	s_ashr_i32 s6, s5, 31
	s_add_i32 s4, s19, 0x7f
	s_lshr_b32 s6, s6, 24
	s_add_i32 s12, s5, s6
	s_ashr_i32 s5, s4, 31
	s_lshr_b32 s5, s5, 25
	s_add_i32 s4, s4, s5
	s_ashr_i32 s13, s12, 8
	s_ashr_i32 s14, s4, 7
	s_mul_i32 s4, s14, s13
	s_abs_i32 s4, s4
	v_cvt_f32_u32_e32 v1, s4
	s_sub_i32 s6, 0, s4
	s_ashr_i32 s5, s2, 31
	s_abs_i32 s2, s2
	v_rcp_iflag_f32_e32 v1, v1
	v_and_b32_e32 v54, 0x7e, v2
	s_mov_b32 s27, 0x20000
	v_and_b32_e32 v57, 0x80, v0
	v_mul_f32_e32 v1, 0x4f7ffffe, v1
	v_cvt_u32_f32_e32 v1, v1
                                        ; kill: killed $sgpr0_sgpr1
	v_mul_u32_u24_e32 v58, 0x2020, v51
	v_mov_b32_e32 v248, 0
	v_lshlrev_b32_e32 v209, 5, v51
	v_readfirstlane_b32 s7, v1
	s_mul_i32 s6, s6, s7
	s_mul_hi_u32 s6, s7, s6
	s_add_i32 s7, s7, s6
	s_mul_hi_u32 s6, s2, s7
	s_mul_i32 s6, s6, s4
	s_sub_i32 s2, s2, s6
	s_sub_i32 s6, s2, s4
	s_cmp_ge_u32 s2, s4
	s_cselect_b32 s2, s6, s2
	s_sub_i32 s6, s2, s4
	s_cmp_ge_u32 s2, s4
	s_cselect_b32 s2, s6, s2
	s_abs_i32 s4, s14
	v_cvt_f32_u32_e32 v1, s4
	s_xor_b32 s2, s2, s5
	s_sub_i32 s2, s2, s5
	s_xor_b32 s5, s2, s14
	v_rcp_iflag_f32_e32 v1, v1
	s_sub_i32 s6, 0, s4
	s_ashr_i32 s15, s5, 31
	s_abs_i32 s7, s2
	v_mul_f32_e32 v1, 0x4f7ffffe, v1
	v_cvt_u32_f32_e32 v1, v1
	v_mov_b32_e32 v249, v248
	v_mov_b32_e32 v250, v248
	v_mov_b32_e32 v251, v248
	v_readfirstlane_b32 s5, v1
	s_mul_i32 s6, s6, s5
	s_mul_hi_u32 s6, s5, s6
	s_add_i32 s5, s5, s6
	s_mul_hi_u32 s5, s7, s5
	s_mul_i32 s6, s5, s4
	s_sub_i32 s6, s7, s6
	s_add_i32 s8, s5, 1
	s_sub_i32 s7, s6, s4
	s_cmp_ge_u32 s6, s4
	s_cselect_b32 s5, s8, s5
	s_cselect_b32 s6, s7, s6
	s_add_i32 s7, s5, 1
	s_cmp_ge_u32 s6, s4
	s_cselect_b32 s17, s7, s5
	s_abs_i32 s18, s3
	v_cvt_f32_u32_e32 v1, s18
	s_sub_i32 s20, 0, s18
	s_abs_i32 s19, s13
	s_xor_b32 s17, s17, s15
	v_rcp_iflag_f32_e32 v1, v1
	s_ashr_i32 s12, s12, 31
	s_sub_i32 s15, s17, s15
	s_mul_i32 s17, s15, s14
	v_mul_f32_e32 v1, 0x4f7ffffe, v1
	v_cvt_u32_f32_e32 v1, v1
	s_load_dwordx8 s[4:11], s[0:1], 0x0
	v_mov_b32_e32 v244, v248
	v_mov_b32_e32 v245, v248
	v_readfirstlane_b32 s21, v1
	s_mul_i32 s20, s20, s21
	s_mul_hi_u32 s20, s21, s20
	s_add_i32 s21, s21, s20
	s_mul_hi_u32 s20, s19, s21
	s_mul_i32 s20, s20, s18
	s_sub_i32 s19, s19, s20
	s_sub_i32 s20, s19, s18
	s_cmp_ge_u32 s19, s18
	s_cselect_b32 s19, s20, s19
	s_sub_i32 s20, s19, s18
	s_cmp_ge_u32 s19, s18
	s_cselect_b32 s19, s20, s19
	s_xor_b32 s19, s19, s12
	s_sub_i32 s12, s19, s12
	s_sub_i32 s13, s13, s12
	s_cmp_lt_i32 s15, s13
	s_cselect_b32 s3, s3, s12
	s_abs_i32 s13, s15
	s_sub_i32 s2, s2, s17
	s_mul_hi_u32 s17, s13, s21
	s_mul_i32 s17, s17, s18
	s_sub_i32 s13, s13, s17
	s_ashr_i32 s12, s15, 31
	s_sub_i32 s17, s13, s18
	s_cmp_ge_u32 s13, s18
	s_cselect_b32 s13, s17, s13
	s_sub_i32 s17, s13, s18
	s_cmp_ge_u32 s13, s18
	s_cselect_b32 s13, s17, s13
	s_abs_i32 s18, s3
	v_cvt_f32_u32_e32 v1, s18
	s_xor_b32 s13, s13, s12
	s_sub_i32 s12, s13, s12
	s_sub_i32 s21, 0, s18
	v_rcp_iflag_f32_e32 v1, v1
	s_mul_i32 s13, s12, s14
	s_add_i32 s13, s13, s2
	s_abs_i32 s14, s13
	v_mul_f32_e32 v1, 0x4f7ffffe, v1
	v_cvt_u32_f32_e32 v1, v1
	s_xor_b32 s2, s13, s3
	s_ashr_i32 s2, s2, 31
	s_load_dword s30, s[0:1], 0x38
	s_load_dword s31, s[0:1], 0x48
	;; [unrolled: 1-line block ×6, first 2 shown]
	v_readfirstlane_b32 s22, v1
	s_mul_i32 s21, s21, s22
	s_mul_hi_u32 s21, s22, s21
	s_add_i32 s22, s22, s21
	s_mul_hi_u32 s21, s14, s22
	s_mul_i32 s22, s21, s18
	s_sub_i32 s14, s14, s22
	s_add_i32 s22, s21, 1
	s_sub_i32 s23, s14, s18
	s_cmp_ge_u32 s14, s18
	s_cselect_b32 s21, s22, s21
	s_cselect_b32 s14, s23, s14
	s_add_i32 s22, s21, 1
	s_cmp_ge_u32 s14, s18
	s_cselect_b32 s14, s22, s21
	s_xor_b32 s14, s14, s2
	s_sub_i32 s28, s14, s2
	s_mul_i32 s2, s28, s3
	s_sub_i32 s2, s13, s2
	s_sub_i32 s29, s15, s12
	s_add_i32 s29, s29, s2
	v_lshl_or_b32 v52, s29, 8, v50
	v_lshlrev_b32_e32 v1, 3, v51
	s_waitcnt lgkmcnt(0)
	v_mul_lo_u32 v53, v52, s30
	v_add_u32_e32 v10, v53, v1
	v_add_u32_e32 v19, s30, v10
	v_lshl_or_b32 v2, s28, 7, v54
	v_add_u32_e32 v26, s30, v19
	v_mul_lo_u32 v55, v2, s33
	v_add_u32_e32 v12, 4, v10
	v_add_u32_e32 v28, 4, v26
	v_add_u32_e32 v1, v55, v1
	s_lshl_b32 s26, s19, 2
	s_and_b32 s25, s5, 0xffff
	s_mov_b32 s24, s4
	v_lshlrev_b32_e32 v11, 2, v10
	v_lshlrev_b32_e32 v13, 2, v12
	v_add_lshl_u32 v18, v12, s30, 2
	v_lshlrev_b32_e32 v20, 2, v19
	v_lshlrev_b32_e32 v27, 2, v26
	v_lshlrev_b32_e32 v29, 2, v28
	v_add_lshl_u32 v34, v28, s30, 2
	buffer_load_dwordx4 v[2:5], v11, s[24:27], 0 offen
	buffer_load_dwordx4 v[6:9], v13, s[24:27], 0 offen
	s_nop 0
	buffer_load_dwordx4 v[10:13], v18, s[24:27], 0 offen
	buffer_load_dwordx4 v[14:17], v20, s[24:27], 0 offen
	s_nop 0
	buffer_load_dwordx4 v[18:21], v27, s[24:27], 0 offen
	buffer_load_dwordx4 v[22:25], v29, s[24:27], 0 offen
	v_add_lshl_u32 v35, v26, s30, 2
	buffer_load_dwordx4 v[26:29], v34, s[24:27], 0 offen
	buffer_load_dwordx4 v[30:33], v35, s[24:27], 0 offen
	v_add_u32_e32 v43, 4, v1
	s_mov_b32 s22, s26
	s_mov_b32 s21, s25
	s_lshl_b32 s26, s20, 2
	s_and_b32 s25, s7, 0xffff
	s_mov_b32 s24, s6
	v_lshlrev_b32_e32 v42, 2, v1
	v_lshlrev_b32_e32 v44, 2, v43
	v_add_lshl_u32 v56, v43, s33, 2
	buffer_load_dwordx4 v[34:37], v42, s[24:27], 0 offen
	buffer_load_dwordx4 v[38:41], v44, s[24:27], 0 offen
	v_add_lshl_u32 v1, v1, s33, 2
	buffer_load_dwordx4 v[42:45], v56, s[24:27], 0 offen
	buffer_load_dwordx4 v[46:49], v1, s[24:27], 0 offen
	s_movk_i32 s2, 0x2020
	v_lshlrev_b32_e32 v50, 5, v50
	v_mad_u32_u24 v59, v51, s2, v50
	s_load_dwordx2 s[18:19], s[0:1], 0xd8
	s_load_dword s24, s[0:1], 0xe8
	s_load_dwordx2 s[14:15], s[0:1], 0x118
	s_movk_i32 s5, 0x1020
	v_and_b32_e32 v1, 15, v0
	s_load_dwordx2 s[12:13], s[0:1], 0x20
	s_waitcnt lgkmcnt(0)
	s_load_dword s19, s[0:1], 0x128
	s_ashr_i32 s1, s31, 31
	s_lshr_b32 s1, s1, 30
	s_add_i32 s31, s31, s1
	v_bfe_u32 v56, v0, 4, 2
	s_mov_b32 s20, s4
	s_ashr_i32 s4, s31, 2
	s_max_i32 s4, s4, 2
	s_mov_b32 s23, s27
	s_mov_b32 s3, s27
	;; [unrolled: 1-line block ×5, first 2 shown]
	s_add_i32 s4, s4, -1
	v_add_u32_e32 v216, v58, v50
	v_mov_b32_e32 v246, v248
	v_mov_b32_e32 v247, v248
	;; [unrolled: 1-line block ×13, first 2 shown]
	s_waitcnt vmcnt(11)
	ds_write_b128 v59, v[2:5]
	s_waitcnt vmcnt(10)
	ds_write_b128 v59, v[6:9] offset:16
	s_waitcnt vmcnt(9)
	ds_write_b128 v59, v[10:13] offset:48
	;; [unrolled: 2-line block ×7, first 2 shown]
	v_lshlrev_b32_e32 v3, 5, v54
	v_mad_u32_u24 v2, v51, s5, v3
	s_waitcnt vmcnt(3)
	ds_write_b128 v2, v[34:37] offset:32864
	s_waitcnt vmcnt(2)
	ds_write_b128 v2, v[38:41] offset:32880
	;; [unrolled: 2-line block ×4, first 2 shown]
	v_lshlrev_b32_e32 v2, 5, v1
	v_lshlrev_b32_e32 v7, 3, v0
	s_movk_i32 s5, 0x200
	v_lshl_or_b32 v5, v57, 2, v2
	v_and_or_b32 v10, v7, s5, v2
	v_add_u32_e32 v2, s33, v55
	v_mov_b32_e32 v9, 0x90
	v_lshl_add_u32 v223, v2, 2, v9
	v_or_b32_e32 v2, 3, v52
	v_mul_lo_u32 v2, s30, v2
	v_lshlrev_b32_e32 v214, 2, v2
	v_or_b32_e32 v2, 2, v52
	v_mul_u32_u24_e32 v4, 0x1020, v51
	v_mul_u32_u24_e32 v6, 0x2020, v56
	;; [unrolled: 1-line block ×3, first 2 shown]
	v_mul_lo_u32 v2, s30, v2
	scratch_store_dword off, v1, off offset:16 ; 4-byte Folded Spill
	v_lshlrev_b32_e32 v1, 2, v55
	v_lshlrev_b32_e32 v7, 2, v53
	v_add_lshl_u32 v9, v53, s30, 2
	v_lshlrev_b32_e32 v215, 2, v2
	v_add_u32_e32 v222, v5, v6
	v_add_u32_e32 v208, v10, v8
	;; [unrolled: 1-line block ×3, first 2 shown]
	v_mov_b32_e32 v14, v248
	v_mov_b32_e32 v15, v248
	;; [unrolled: 1-line block ×109, first 2 shown]
.LBB1_1:                                ; =>This Inner Loop Header: Depth=1
	v_add_u32_e32 v6, v209, v7
	v_add_u32_e32 v10, v209, v9
	buffer_load_dwordx4 v[34:37], v6, s[20:23], 0 offen offset:128
	buffer_load_dwordx4 v[38:41], v6, s[20:23], 0 offen offset:144
	;; [unrolled: 1-line block ×3, first 2 shown]
	v_add_u32_e32 v11, v209, v215
	v_add_u32_e32 v12, v209, v214
	v_mov_b64_e32 v[210:211], v[248:249]
	v_mov_b64_e32 v[212:213], v[250:251]
	s_add_i32 s4, s4, -1
	v_add_u32_e32 v7, 0x80, v7
	v_add_u32_e32 v9, 0x80, v9
	;; [unrolled: 1-line block ×4, first 2 shown]
	s_cmp_lg_u32 s4, 0
	s_waitcnt vmcnt(0)
	scratch_store_dwordx4 off, v[2:5], off  ; 16-byte Folded Spill
	buffer_load_dwordx4 v[54:57], v10, s[20:23], 0 offen offset:144
	buffer_load_dwordx4 v[46:49], v11, s[20:23], 0 offen offset:128
	;; [unrolled: 1-line block ×5, first 2 shown]
	s_waitcnt lgkmcnt(0)
	s_barrier
	ds_read_b128 v[142:145], v222
	ds_read_b128 v[82:85], v208 offset:32864
	ds_read_b128 v[174:177], v222 offset:16
	ds_read_b128 v[162:165], v208 offset:32880
	s_waitcnt lgkmcnt(2)
	v_mfma_f32_16x16x4_f32 v[218:221], v142, v82, v[18:21]
	ds_read_b128 v[18:21], v208 offset:33888
	ds_read_b128 v[158:161], v208 offset:33904
	;; [unrolled: 1-line block ×8, first 2 shown]
	v_mov_b64_e32 v[2:3], v[244:245]
	v_mov_b64_e32 v[4:5], v[246:247]
	s_waitcnt lgkmcnt(7)
	v_mfma_f32_16x16x4_f32 v[22:25], v142, v18, v[22:25]
	s_waitcnt lgkmcnt(5)
	v_mfma_f32_16x16x4_f32 v[228:231], v142, v224, v[190:193]
	ds_read_b128 v[240:243], v222 offset:2048
	ds_read_b128 v[192:195], v222 offset:2064
	;; [unrolled: 1-line block ×8, first 2 shown]
	s_waitcnt lgkmcnt(11)
	v_mfma_f32_16x16x4_f32 v[186:189], v142, v232, v[186:189]
	v_mfma_f32_16x16x4_f32 v[218:221], v143, v83, v[218:221]
	;; [unrolled: 1-line block ×5, first 2 shown]
	s_waitcnt lgkmcnt(9)
	v_mfma_f32_16x16x4_f32 v[178:181], v236, v82, v[178:181]
	v_mfma_f32_16x16x4_f32 v[170:173], v236, v18, v[170:173]
	v_mfma_f32_16x16x4_f32 v[166:169], v236, v224, v[166:169]
	v_mfma_f32_16x16x4_f32 v[154:157], v236, v232, v[154:157]
	s_waitcnt lgkmcnt(7)
	v_mfma_f32_16x16x4_f32 v[150:153], v240, v82, v[150:153]
	v_mfma_f32_16x16x4_f32 v[146:149], v240, v18, v[146:149]
	;; [unrolled: 1-line block ×8, first 2 shown]
	s_waitcnt lgkmcnt(5)
	v_mfma_f32_16x16x4_f32 v[126:129], v244, v82, v[126:129]
	v_mfma_f32_16x16x4_f32 v[122:125], v244, v18, v[122:125]
	;; [unrolled: 1-line block ×36, first 2 shown]
	ds_read_b128 v[236:239], v222 offset:6144
	ds_read_b128 v[10:13], v222 offset:6160
	v_mfma_f32_16x16x4_f32 v[150:153], v243, v85, v[142:145]
	v_mfma_f32_16x16x4_f32 v[146:149], v243, v21, v[146:149]
	;; [unrolled: 1-line block ×4, first 2 shown]
	ds_read_b128 v[240:243], v222 offset:7168
	ds_read_b128 v[142:145], v222 offset:7184
	s_waitcnt lgkmcnt(7)
	v_mfma_f32_16x16x4_f32 v[110:113], v248, v82, v[110:113]
	v_mfma_f32_16x16x4_f32 v[106:109], v248, v18, v[106:109]
	s_waitcnt lgkmcnt(5)
	v_mfma_f32_16x16x4_f32 v[90:93], v252, v82, v[90:93]
	v_mfma_f32_16x16x4_f32 v[86:89], v252, v18, v[86:89]
	;; [unrolled: 3-line block ×3, first 2 shown]
	v_mfma_f32_16x16x4_f32 v[58:61], v236, v224, v[58:61]
	v_mfma_f32_16x16x4_f32 v[42:45], v236, v232, v[42:45]
	s_waitcnt lgkmcnt(1)
	v_mfma_f32_16x16x4_f32 v[30:33], v240, v82, v[30:33]
	v_mfma_f32_16x16x4_f32 v[14:17], v240, v18, v[14:17]
	;; [unrolled: 1-line block ×66, first 2 shown]
	s_waitcnt lgkmcnt(0)
	v_mfma_f32_16x16x4_f32 v[30:33], v142, v162, v[30:33]
	v_mfma_f32_16x16x4_f32 v[14:17], v142, v158, v[14:17]
	;; [unrolled: 1-line block ×35, first 2 shown]
	v_add_u32_e32 v94, v209, v223
	v_add_u32_e32 v223, 0x80, v223
	v_mfma_f32_16x16x4_f32 v[218:221], v175, v139, v[218:221]
	v_mfma_f32_16x16x4_f32 v[18:21], v143, v139, v[18:21]
	;; [unrolled: 1-line block ×29, first 2 shown]
	v_add_u32_e32 v95, -16, v94
	v_mfma_f32_16x16x4_f32 v[190:193], v176, v140, v[218:221]
	v_mfma_f32_16x16x4_f32 v[218:221], v144, v140, v[18:21]
	;; [unrolled: 1-line block ×3, first 2 shown]
	v_add_u32_e32 v82, v209, v1
	v_add_u32_e32 v1, 0x80, v1
	v_mfma_f32_16x16x4_f32 v[22:25], v177, v161, v[22:25]
	v_mfma_f32_16x16x4_f32 v[178:181], v185, v165, v[178:181]
	v_mfma_f32_16x16x4_f32 v[170:173], v185, v161, v[170:173]
	v_mfma_f32_16x16x4_f32 v[150:153], v195, v165, v[150:153]
	v_mfma_f32_16x16x4_f32 v[146:149], v195, v161, v[146:149]
	v_mfma_f32_16x16x4_f32 v[126:129], v199, v165, v[126:129]
	v_mfma_f32_16x16x4_f32 v[122:125], v199, v161, v[122:125]
	v_mfma_f32_16x16x4_f32 v[110:113], v203, v165, v[110:113]
	v_mfma_f32_16x16x4_f32 v[106:109], v203, v161, v[106:109]
	v_mfma_f32_16x16x4_f32 v[90:93], v207, v165, v[90:93]
	v_mfma_f32_16x16x4_f32 v[86:89], v207, v161, v[86:89]
	v_mfma_f32_16x16x4_f32 v[70:73], v13, v165, v[70:73]
	v_mfma_f32_16x16x4_f32 v[66:69], v13, v161, v[66:69]
	v_mfma_f32_16x16x4_f32 v[58:61], v13, v141, v[58:61]
	v_mfma_f32_16x16x4_f32 v[42:45], v13, v97, v[42:45]
	v_mfma_f32_16x16x4_f32 v[30:33], v145, v165, v[30:33]
	buffer_load_dwordx4 v[10:13], v82, s[0:3], 0 offen offset:128
	s_nop 0
	buffer_load_dwordx4 v[82:85], v82, s[0:3], 0 offen offset:144
	s_nop 0
	buffer_load_dwordx4 v[162:165], v94, s[0:3], 0 offen
	v_mfma_f32_16x16x4_f32 v[14:17], v145, v161, v[14:17]
	buffer_load_dwordx4 v[158:161], v95, s[0:3], 0 offen
	s_waitcnt lgkmcnt(0)
	s_barrier
	ds_write_b128 v216, v[34:37]
	ds_write_b128 v216, v[38:41] offset:16
	s_waitcnt vmcnt(8)
	ds_write_b128 v216, v[54:57] offset:48
	v_mfma_f32_16x16x4_f32 v[102:105], v251, v227, v[102:105]
	v_mfma_f32_16x16x4_f32 v[248:251], v145, v97, v[2:5]
	scratch_load_dwordx4 v[2:5], off, off   ; 16-byte Folded Reload
	s_waitcnt vmcnt(0)
	ds_write_b128 v216, v[2:5] offset:32
	ds_write_b128 v216, v[46:49] offset:64
	;; [unrolled: 1-line block ×9, first 2 shown]
	v_mfma_f32_16x16x4_f32 v[78:81], v252, v224, v[78:81]
	v_mfma_f32_16x16x4_f32 v[78:81], v253, v225, v[78:81]
	;; [unrolled: 1-line block ×36, first 2 shown]
	s_cbranch_scc1 .LBB1_1
; %bb.2:
	s_waitcnt lgkmcnt(0)
	s_barrier
	ds_read_b128 v[214:217], v222
	ds_read_b128 v[62:65], v208 offset:32864
	ds_read_b128 v[210:213], v222 offset:16
	;; [unrolled: 1-line block ×3, first 2 shown]
	s_waitcnt lgkmcnt(2)
	v_mfma_f32_16x16x4_f32 v[10:13], v214, v62, v[18:21]
	ds_read_b128 v[54:57], v208 offset:33888
	ds_read_b128 v[18:21], v208 offset:33904
	;; [unrolled: 1-line block ×18, first 2 shown]
	v_lshrrev_b32_e32 v238, 3, v0
	v_lshl_or_b32 v243, s29, 8, v238
	s_lshl_b32 s2, s18, 2
	s_mov_b32 s3, 0x20000
	v_mfma_f32_16x16x4_f32 v[10:13], v215, v63, v[10:13]
	s_lshl_b32 s6, s14, 2
	s_and_b32 s5, s11, 0xffff
	s_mov_b32 s4, s10
	s_mov_b32 s7, s3
	;; [unrolled: 1-line block ×4, first 2 shown]
	s_and_b32 s13, s13, 0xffff
	v_mfma_f32_16x16x4_f32 v[10:13], v216, v64, v[10:13]
	s_lshl_b32 s18, s17, 5
	v_mfma_f32_16x16x4_f32 v[10:13], v217, v65, v[10:13]
	s_waitcnt lgkmcnt(14)
	v_mfma_f32_16x16x4_f32 v[10:13], v210, v6, v[10:13]
	v_mfma_f32_16x16x4_f32 v[10:13], v211, v7, v[10:13]
	;; [unrolled: 1-line block ×5, first 2 shown]
	ds_read_b128 v[22:25], v222 offset:7184
	ds_read_b128 v[46:49], v222 offset:7168
	s_waitcnt lgkmcnt(0)
	s_barrier
	scratch_load_dword v1, off, off offset:16 ; 4-byte Folded Reload
	v_lshrrev_b32_e32 v222, 2, v0
	v_and_b32_e32 v222, 12, v222
	v_and_or_b32 v230, v238, 16, v222
	v_lshlrev_b32_e32 v222, 2, v0
	v_and_b32_e32 v239, 28, v222
	v_lshl_or_b32 v242, s28, 7, v239
	v_mad_u64_u32 v[222:223], s[0:1], v243, s17, v[242:243]
	v_mad_u64_u32 v[224:225], s[0:1], v243, s24, v[242:243]
	v_mfma_f32_16x16x4_f32 v[226:229], v214, v50, v[190:193]
	v_and_b32_e32 v0, 64, v0
	v_lshlrev_b32_e32 v190, 7, v230
	s_and_b32 s1, s9, 0xffff
	s_mov_b32 s0, s8
	v_lshlrev_b32_e32 v193, 2, v222
	s_mov_b32 s8, 0xbfcc4231
	s_mov_b32 s9, 0xc2ce8ed0
	v_mfma_f32_16x16x4_f32 v[10:13], v215, v55, v[10:13]
	s_lshl_b32 s17, s24, 5
	s_waitcnt vmcnt(0)
	v_lshlrev_b32_e32 v1, 2, v1
	v_or3_b32 v191, v0, v190, v1
	ds_write2_b32 v191, v218, v219 offset1:32
	ds_write2_b32 v191, v220, v221 offset0:64 offset1:96
	s_waitcnt lgkmcnt(0)
	s_barrier
	buffer_load_dwordx4 v[230:233], v193, s[0:3], 0 offen
	v_lshlrev_b32_e32 v218, 2, v224
	buffer_load_dwordx4 v[234:237], v218, s[4:7], 0 offen
	v_lshlrev_b32_e32 v0, 2, v239
	v_lshl_or_b32 v192, v238, 7, v0
	ds_read_b128 v[238:241], v192
	v_mfma_f32_16x16x4_f32 v[10:13], v216, v56, v[10:13]
	s_waitcnt vmcnt(1) lgkmcnt(0)
	v_add_f32_e64 v0, v238, v230
	v_add_f32_e64 v1, v239, v231
	v_mfma_f32_16x16x4_f32 v[10:13], v217, v57, v[10:13]
	s_waitcnt vmcnt(0)
	v_add_f32_e64 v220, v0, v234
	v_add_f32_e64 v221, v1, v235
	v_mul_f32_e32 v0, 0x3d92220c, v220
	v_mul_f32_e32 v1, 0x3d92220c, v221
	v_fma_f32 v0, -v220, v0, s8
	v_fma_f32 v1, -v221, v1, s8
	v_mul_f32_e32 v219, v220, v0
	v_mul_f32_e32 v223, v221, v1
	v_mul_f32_e32 v0, 0x3fb8aa3b, v219
	v_mul_f32_e32 v1, 0x3fb8aa3b, v223
	v_fma_f32 v190, v219, s11, -v0
	v_rndne_f32_e32 v225, v0
	v_fma_f32 v230, v223, s11, -v1
	v_fmac_f32_e32 v190, 0x32a5705f, v219
	v_sub_f32_e32 v0, v0, v225
	v_rndne_f32_e32 v231, v1
	v_add_f32_e32 v0, v0, v190
	v_fmac_f32_e32 v230, 0x32a5705f, v223
	v_sub_f32_e32 v1, v1, v231
	v_add_f32_e32 v1, v1, v230
	v_cvt_i32_f32_e32 v225, v225
	v_cvt_i32_f32_e32 v230, v231
	v_exp_f32_e32 v231, v0
	v_exp_f32_e32 v234, v1
	v_mad_u64_u32 v[0:1], s[14:15], v243, s19, v[242:243]
	v_ldexp_f32 v1, v231, v225
	v_cmp_ngt_f32_e32 vcc, s9, v219
	v_ldexp_f32 v225, v234, v230
	v_mov_b32_e32 v190, 0x7f800000
	v_cndmask_b32_e32 v1, 0, v1, vcc
	v_cmp_ngt_f32_e32 vcc, s9, v223
	v_mfma_f32_16x16x4_f32 v[186:189], v214, v38, v[186:189]
	s_lshl_b32 s14, s16, 2
	v_cndmask_b32_e32 v225, 0, v225, vcc
	v_cmp_nlt_f32_e32 vcc, s10, v219
	s_mov_b32 s15, s3
	s_lshl_b32 s16, s19, 5
	v_cndmask_b32_e32 v230, v190, v1, vcc
	v_cmp_nlt_f32_e32 vcc, s10, v223
	v_mfma_f32_16x16x4_f32 v[10:13], v210, v18, v[10:13]
	s_nop 0
	v_cndmask_b32_e32 v231, v190, v225, vcc
	v_add_f32_e64 v230, v230, 1.0
	v_add_f32_e64 v231, v231, 1.0
	v_frexp_mant_f32_e32 v1, v230
	v_frexp_mant_f32_e32 v223, v231
	v_rcp_f32_e32 v1, v1
	v_rcp_f32_e32 v223, v223
	v_frexp_exp_i32_f32_e32 v219, v230
	v_frexp_exp_i32_f32_e32 v225, v231
	v_sub_u32_e32 v219, 0, v219
	v_sub_u32_e32 v225, 0, v225
	v_ldexp_f32 v230, v1, v219
	v_ldexp_f32 v231, v223, v225
	v_pk_mul_f32 v[230:231], v[220:221], v[230:231]
	v_pk_add_f32 v[220:221], v[240:241], v[232:233]
	v_mfma_f32_16x16x4_f32 v[226:229], v215, v51, v[226:229]
	v_add_f32_e64 v220, v220, v236
	v_add_f32_e64 v221, v221, v237
	v_mul_f32_e32 v1, 0x3d92220c, v220
	v_fma_f32 v1, -v220, v1, s8
	v_mul_f32_e32 v219, v220, v1
	v_mul_f32_e32 v1, 0x3fb8aa3b, v219
	v_fma_f32 v223, v219, s11, -v1
	v_mfma_f32_16x16x4_f32 v[186:189], v215, v39, v[186:189]
	v_rndne_f32_e32 v225, v1
	v_fmac_f32_e32 v223, 0x32a5705f, v219
	v_sub_f32_e32 v1, v1, v225
	v_add_f32_e32 v1, v1, v223
	v_exp_f32_e32 v223, v1
	v_cvt_i32_f32_e32 v225, v225
	v_cmp_ngt_f32_e32 vcc, s9, v219
	v_mfma_f32_16x16x4_f32 v[10:13], v211, v19, v[10:13]
	v_lshlrev_b32_e32 v1, 2, v0
	v_ldexp_f32 v214, v223, v225
	v_mul_f32_e32 v223, 0x3d92220c, v221
	v_fma_f32 v223, -v221, v223, s8
	v_mul_f32_e32 v223, v221, v223
	v_mul_f32_e32 v225, 0x3fb8aa3b, v223
	v_fma_f32 v215, v223, s11, -v225
	v_mfma_f32_16x16x4_f32 v[226:229], v216, v52, v[226:229]
	v_rndne_f32_e32 v232, v225
	v_fmac_f32_e32 v215, 0x32a5705f, v223
	v_sub_f32_e32 v225, v225, v232
	v_add_f32_e32 v215, v225, v215
	v_exp_f32_e32 v215, v215
	v_cvt_i32_f32_e32 v225, v232
	v_cndmask_b32_e32 v214, 0, v214, vcc
	v_mfma_f32_16x16x4_f32 v[186:189], v216, v40, v[186:189]
	v_cmp_nlt_f32_e32 vcc, s10, v219
	v_ldexp_f32 v215, v215, v225
	s_nop 0
	v_cndmask_b32_e32 v214, v190, v214, vcc
	v_cmp_ngt_f32_e32 vcc, s9, v223
	v_mfma_f32_16x16x4_f32 v[10:13], v212, v20, v[10:13]
	s_nop 0
	v_cndmask_b32_e32 v215, 0, v215, vcc
	v_cmp_nlt_f32_e32 vcc, s10, v223
	s_nop 1
	v_cndmask_b32_e32 v215, v190, v215, vcc
	v_add_f32_e64 v214, v214, 1.0
	v_add_f32_e64 v215, v215, 1.0
	v_mfma_f32_16x16x4_f32 v[226:229], v217, v53, v[226:229]
	v_frexp_mant_f32_e32 v216, v214
	v_rcp_f32_e32 v216, v216
	v_frexp_exp_i32_f32_e32 v214, v214
	v_sub_u32_e32 v214, 0, v214
	v_ldexp_f32 v214, v216, v214
	v_mfma_f32_16x16x4_f32 v[186:189], v217, v41, v[186:189]
	v_frexp_mant_f32_e32 v217, v215
	v_frexp_exp_i32_f32_e32 v215, v215
	v_sub_u32_e32 v215, 0, v215
	v_mfma_f32_16x16x4_f32 v[10:13], v213, v21, v[10:13]
	v_mfma_f32_16x16x4_f32 v[226:229], v210, v26, v[226:229]
	;; [unrolled: 1-line block ×3, first 2 shown]
	v_rcp_f32_e32 v210, v217
	s_nop 0
	v_ldexp_f32 v215, v210, v215
	v_pk_mul_f32 v[232:233], v[220:221], v[214:215]
	buffer_store_dwordx4 v[230:233], v1, s[12:15], 0 offen
	s_waitcnt lgkmcnt(0)
	s_barrier
	s_nop 0
	ds_write2_b32 v191, v10, v11 offset1:32
	ds_write2_b32 v191, v12, v13 offset0:64 offset1:96
	s_waitcnt lgkmcnt(0)
	s_barrier
	buffer_load_dwordx4 v[10:13], v193, s[0:3], 0 offen offset:128
	buffer_load_dwordx4 v[214:217], v218, s[4:7], 0 offen offset:128
	v_mfma_f32_16x16x4_f32 v[226:229], v211, v27, v[226:229]
	ds_read_b128 v[230:233], v192
	s_waitcnt vmcnt(1) lgkmcnt(0)
	v_add_f32_e64 v10, v230, v10
	v_add_f32_e64 v11, v231, v11
	v_mfma_f32_16x16x4_f32 v[186:189], v211, v35, v[186:189]
	s_waitcnt vmcnt(0)
	v_add_f32_e64 v210, v10, v214
	v_add_f32_e64 v211, v11, v215
	v_mul_f32_e32 v10, 0x3d92220c, v210
	v_mul_f32_e32 v11, 0x3d92220c, v211
	v_fma_f32 v10, -v210, v10, s8
	v_fma_f32 v11, -v211, v11, s8
	v_mul_f32_e32 v10, v210, v10
	v_mfma_f32_16x16x4_f32 v[226:229], v212, v28, v[226:229]
	v_mul_f32_e32 v11, v211, v11
	v_cmp_ngt_f32_e32 vcc, s9, v10
	v_mfma_f32_16x16x4_f32 v[186:189], v212, v36, v[186:189]
	v_mul_f32_e32 v212, 0x3fb8aa3b, v10
	v_fma_f32 v214, v10, s11, -v212
	v_rndne_f32_e32 v215, v212
	v_fmac_f32_e32 v214, 0x32a5705f, v10
	v_sub_f32_e32 v212, v212, v215
	v_add_f32_e32 v212, v212, v214
	v_cvt_i32_f32_e32 v215, v215
	v_mfma_f32_16x16x4_f32 v[178:181], v206, v62, v[178:181]
	v_exp_f32_e32 v212, v212
	s_nop 0
	v_ldexp_f32 v212, v212, v215
	v_cndmask_b32_e32 v212, 0, v212, vcc
	v_cmp_ngt_f32_e32 vcc, s9, v11
	v_mfma_f32_16x16x4_f32 v[226:229], v213, v29, v[226:229]
	v_mfma_f32_16x16x4_f32 v[186:189], v213, v37, v[186:189]
	v_mul_f32_e32 v213, 0x3fb8aa3b, v11
	v_fma_f32 v219, v11, s11, -v213
	v_rndne_f32_e32 v220, v213
	v_fmac_f32_e32 v219, 0x32a5705f, v11
	v_sub_f32_e32 v213, v213, v220
	v_add_f32_e32 v213, v213, v219
	v_cvt_i32_f32_e32 v220, v220
	v_mfma_f32_16x16x4_f32 v[178:181], v207, v63, v[178:181]
	v_exp_f32_e32 v213, v213
	s_nop 0
	v_ldexp_f32 v213, v213, v220
	v_cndmask_b32_e32 v213, 0, v213, vcc
	v_cmp_nlt_f32_e32 vcc, s10, v10
	v_mfma_f32_16x16x4_f32 v[178:181], v208, v64, v[178:181]
	s_nop 0
	v_cndmask_b32_e32 v10, v190, v212, vcc
	v_cmp_nlt_f32_e32 vcc, s10, v11
	s_nop 1
	v_cndmask_b32_e32 v11, v190, v213, vcc
	v_add_f32_e64 v10, v10, 1.0
	v_add_f32_e64 v11, v11, 1.0
	v_mfma_f32_16x16x4_f32 v[178:181], v209, v65, v[178:181]
	v_frexp_mant_f32_e32 v212, v10
	v_rcp_f32_e32 v212, v212
	v_frexp_exp_i32_f32_e32 v10, v10
	v_sub_u32_e32 v10, 0, v10
	v_frexp_mant_f32_e32 v213, v11
	v_frexp_exp_i32_f32_e32 v11, v11
	v_sub_u32_e32 v219, 0, v11
	v_ldexp_f32 v212, v212, v10
	v_pk_add_f32 v[10:11], v[232:233], v[12:13]
	v_rcp_f32_e32 v213, v213
	v_pk_add_f32 v[214:215], v[10:11], v[216:217]
	v_mfma_f32_16x16x4_f32 v[170:173], v206, v54, v[170:173]
	v_mul_f32_e32 v10, 0x3d92220c, v214
	v_fma_f32 v10, -v214, v10, s8
	v_mul_f32_e32 v216, v214, v10
	v_mul_f32_e32 v217, 0x3fb8aa3b, v216
	v_ldexp_f32 v213, v213, v219
	v_cmp_ngt_f32_e32 vcc, s9, v216
	v_mfma_f32_16x16x4_f32 v[10:13], v202, v6, v[178:181]
	v_fma_f32 v178, v216, s11, -v217
	v_rndne_f32_e32 v179, v217
	v_fmac_f32_e32 v178, 0x32a5705f, v216
	v_sub_f32_e32 v180, v217, v179
	v_add_f32_e32 v178, v180, v178
	v_exp_f32_e32 v180, v178
	v_cvt_i32_f32_e32 v181, v179
	v_pk_mul_f32 v[178:179], v[210:211], v[212:213]
	v_mfma_f32_16x16x4_f32 v[170:173], v207, v55, v[170:173]
	v_ldexp_f32 v180, v180, v181
	v_mul_f32_e32 v181, 0x3d92220c, v215
	v_fma_f32 v181, -v215, v181, s8
	v_mul_f32_e32 v181, v215, v181
	v_mul_f32_e32 v210, 0x3fb8aa3b, v181
	v_fma_f32 v211, v181, s11, -v210
	v_rndne_f32_e32 v212, v210
	v_fmac_f32_e32 v211, 0x32a5705f, v181
	v_sub_f32_e32 v210, v210, v212
	v_add_f32_e32 v210, v210, v211
	v_exp_f32_e32 v210, v210
	v_cvt_i32_f32_e32 v211, v212
	v_cndmask_b32_e32 v180, 0, v180, vcc
	v_cmp_nlt_f32_e32 vcc, s10, v216
	v_mfma_f32_16x16x4_f32 v[170:173], v208, v56, v[170:173]
	v_ldexp_f32 v210, v210, v211
	v_cndmask_b32_e32 v180, v190, v180, vcc
	v_cmp_ngt_f32_e32 vcc, s9, v181
	s_nop 1
	v_cndmask_b32_e32 v210, 0, v210, vcc
	v_cmp_nlt_f32_e32 vcc, s10, v181
	v_mfma_f32_16x16x4_f32 v[10:13], v203, v7, v[10:13]
	s_nop 0
	v_cndmask_b32_e32 v181, v190, v210, vcc
	v_add_f32_e64 v180, v180, 1.0
	v_add_f32_e64 v181, v181, 1.0
	v_frexp_mant_f32_e32 v210, v180
	v_frexp_mant_f32_e32 v211, v181
	v_rcp_f32_e32 v210, v210
	v_rcp_f32_e32 v211, v211
	v_frexp_exp_i32_f32_e32 v180, v180
	v_frexp_exp_i32_f32_e32 v181, v181
	v_sub_u32_e32 v180, 0, v180
	v_sub_u32_e32 v181, 0, v181
	v_ldexp_f32 v180, v210, v180
	v_ldexp_f32 v181, v211, v181
	v_pk_mul_f32 v[180:181], v[214:215], v[180:181]
	buffer_store_dwordx4 v[178:181], v1, s[12:15], 0 offen offset:128
	s_waitcnt lgkmcnt(0)
	s_barrier
	ds_write2_b32 v191, v226, v227 offset1:32
	ds_write2_b32 v191, v228, v229 offset0:64 offset1:96
	s_waitcnt lgkmcnt(0)
	s_barrier
	buffer_load_dwordx4 v[178:181], v193, s[0:3], 0 offen offset:256
	buffer_load_dwordx4 v[214:217], v218, s[4:7], 0 offen offset:256
	v_mfma_f32_16x16x4_f32 v[170:173], v209, v57, v[170:173]
	ds_read_b128 v[226:229], v192
	v_mfma_f32_16x16x4_f32 v[10:13], v204, v8, v[10:13]
	v_mfma_f32_16x16x4_f32 v[210:213], v202, v18, v[170:173]
	;; [unrolled: 1-line block ×3, first 2 shown]
	s_waitcnt vmcnt(1) lgkmcnt(0)
	s_nop 6
	v_add_f32_e64 v10, v226, v178
	v_add_f32_e64 v11, v227, v179
	;; [unrolled: 1-line block ×4, first 2 shown]
	s_waitcnt vmcnt(0)
	v_pk_add_f32 v[214:215], v[10:11], v[214:215]
	v_pk_add_f32 v[216:217], v[12:13], v[216:217]
	v_mul_f32_e32 v10, 0x3d92220c, v214
	v_mul_f32_e32 v11, 0x3d92220c, v215
	;; [unrolled: 1-line block ×3, first 2 shown]
	v_fma_f32 v10, -v214, v10, s8
	v_fma_f32 v11, -v215, v11, s8
	;; [unrolled: 1-line block ×3, first 2 shown]
	v_mul_f32_e32 v179, v214, v10
	v_mul_f32_e32 v180, v215, v11
	v_mfma_f32_16x16x4_f32 v[10:13], v203, v19, v[210:213]
	v_mul_f32_e32 v181, 0x3fb8aa3b, v179
	v_mul_f32_e32 v219, 0x3fb8aa3b, v180
	v_fma_f32 v210, v179, s11, -v181
	v_rndne_f32_e32 v211, v181
	v_fma_f32 v212, v180, s11, -v219
	v_rndne_f32_e32 v213, v219
	v_fmac_f32_e32 v210, 0x32a5705f, v179
	v_sub_f32_e32 v181, v181, v211
	v_fmac_f32_e32 v212, 0x32a5705f, v180
	v_sub_f32_e32 v219, v219, v213
	v_add_f32_e32 v181, v181, v210
	v_cvt_i32_f32_e32 v211, v211
	v_add_f32_e32 v210, v219, v212
	v_exp_f32_e32 v181, v181
	v_cvt_i32_f32_e32 v213, v213
	v_exp_f32_e32 v210, v210
	v_mfma_f32_16x16x4_f32 v[10:13], v204, v20, v[10:13]
	v_mul_f32_e32 v212, v216, v178
	v_ldexp_f32 v178, v181, v211
	v_cmp_ngt_f32_e32 vcc, s9, v179
	v_ldexp_f32 v181, v210, v213
	v_mul_f32_e32 v219, 0x3fb8aa3b, v212
	v_cndmask_b32_e32 v178, 0, v178, vcc
	v_cmp_ngt_f32_e32 vcc, s9, v180
	v_rndne_f32_e32 v221, v219
	v_mfma_f32_16x16x4_f32 v[154:157], v206, v38, v[154:157]
	v_cndmask_b32_e32 v181, 0, v181, vcc
	v_cmp_nlt_f32_e32 vcc, s10, v179
	s_nop 1
	v_cndmask_b32_e32 v178, v190, v178, vcc
	v_cmp_nlt_f32_e32 vcc, s10, v180
	v_mfma_f32_16x16x4_f32 v[150:153], v198, v62, v[150:153]
	s_nop 0
	v_cndmask_b32_e32 v179, v190, v181, vcc
	v_add_f32_e64 v178, v178, 1.0
	v_add_f32_e64 v179, v179, 1.0
	v_cmp_ngt_f32_e32 vcc, s9, v212
	v_frexp_mant_f32_e32 v180, v178
	v_frexp_exp_i32_f32_e32 v178, v178
	v_frexp_mant_f32_e32 v181, v179
	v_frexp_exp_i32_f32_e32 v211, v179
	v_sub_u32_e32 v210, 0, v178
	v_rcp_f32_e32 v213, v180
	v_rcp_f32_e32 v220, v181
	v_mfma_f32_16x16x4_f32 v[178:181], v205, v21, v[10:13]
	v_fma_f32 v10, v212, s11, -v219
	v_fmac_f32_e32 v10, 0x32a5705f, v212
	v_sub_f32_e32 v11, v219, v221
	v_add_f32_e32 v10, v11, v10
	v_exp_f32_e32 v219, v10
	v_ldexp_f32 v210, v213, v210
	v_mfma_f32_16x16x4_f32 v[10:13], v206, v50, v[166:169]
	v_mul_f32_e32 v169, 0x3d92220c, v217
	v_sub_u32_e32 v166, 0, v211
	v_fma_f32 v169, -v217, v169, s8
	v_ldexp_f32 v211, v220, v166
	v_mul_f32_e32 v169, v217, v169
	v_pk_mul_f32 v[166:167], v[214:215], v[210:211]
	v_mul_f32_e32 v210, 0x3fb8aa3b, v169
	v_fma_f32 v211, v169, s11, -v210
	v_rndne_f32_e32 v213, v210
	v_cvt_i32_f32_e32 v168, v221
	v_fmac_f32_e32 v211, 0x32a5705f, v169
	v_sub_f32_e32 v210, v210, v213
	v_add_f32_e32 v210, v210, v211
	v_exp_f32_e32 v210, v210
	v_cvt_i32_f32_e32 v211, v213
	v_ldexp_f32 v168, v219, v168
	v_cndmask_b32_e32 v168, 0, v168, vcc
	v_cmp_nlt_f32_e32 vcc, s10, v212
	v_ldexp_f32 v210, v210, v211
	v_mfma_f32_16x16x4_f32 v[10:13], v207, v51, v[10:13]
	v_cndmask_b32_e32 v168, v190, v168, vcc
	v_cmp_ngt_f32_e32 vcc, s9, v169
	s_nop 1
	v_cndmask_b32_e32 v210, 0, v210, vcc
	v_cmp_nlt_f32_e32 vcc, s10, v169
	v_mfma_f32_16x16x4_f32 v[10:13], v208, v52, v[10:13]
	s_nop 0
	v_cndmask_b32_e32 v169, v190, v210, vcc
	v_add_f32_e64 v168, v168, 1.0
	v_add_f32_e64 v169, v169, 1.0
	v_frexp_mant_f32_e32 v210, v168
	v_rcp_f32_e32 v210, v210
	v_frexp_exp_i32_f32_e32 v168, v168
	v_sub_u32_e32 v168, 0, v168
	v_mfma_f32_16x16x4_f32 v[10:13], v209, v53, v[10:13]
	v_ldexp_f32 v168, v210, v168
	v_frexp_mant_f32_e32 v210, v169
	v_rcp_f32_e32 v210, v210
	v_frexp_exp_i32_f32_e32 v169, v169
	v_sub_u32_e32 v169, 0, v169
	v_ldexp_f32 v169, v210, v169
	v_pk_mul_f32 v[168:169], v[216:217], v[168:169]
	v_add_u32_e32 v216, 0x60, v222
	buffer_store_dwordx4 v[166:169], v1, s[12:15], 0 offen offset:256
	v_add_u32_e32 v217, 0x60, v224
	s_waitcnt lgkmcnt(0)
	v_lshlrev_b32_e32 v166, 2, v216
	s_barrier
	ds_write2_b32 v191, v186, v187 offset1:32
	ds_write2_b32 v191, v188, v189 offset0:64 offset1:96
	s_waitcnt lgkmcnt(0)
	s_barrier
	buffer_load_dwordx2 v[210:211], v166, s[0:3], 0 offen
	v_lshlrev_b32_e32 v166, 2, v217
	buffer_load_dwordx2 v[212:213], v166, s[4:7], 0 offen
	buffer_load_dwordx2 v[214:215], v193, s[0:3], 0 offen offset:392
	v_mfma_f32_16x16x4_f32 v[166:169], v207, v39, v[154:157]
	buffer_load_dwordx2 v[206:207], v218, s[4:7], 0 offen offset:392
	ds_read_b128 v[186:189], v192
	v_mfma_f32_16x16x4_f32 v[10:13], v202, v26, v[10:13]
	v_mfma_f32_16x16x4_f32 v[10:13], v203, v27, v[10:13]
	;; [unrolled: 1-line block ×4, first 2 shown]
	s_waitcnt vmcnt(3) lgkmcnt(0)
	s_nop 7
	v_add_f32_e64 v10, v186, v210
	v_add_f32_e64 v11, v187, v211
	s_waitcnt vmcnt(2)
	v_add_f32_e64 v186, v10, v212
	v_add_f32_e64 v187, v11, v213
	v_mfma_f32_16x16x4_f32 v[150:153], v199, v63, v[150:153]
	v_mul_f32_e32 v10, 0x3d92220c, v186
	v_mul_f32_e32 v11, 0x3d92220c, v187
	v_fma_f32 v10, -v186, v10, s8
	v_fma_f32 v11, -v187, v11, s8
	v_mul_f32_e32 v193, v186, v10
	v_mul_f32_e32 v210, v187, v11
	;; [unrolled: 1-line block ×4, first 2 shown]
	v_mfma_f32_16x16x4_f32 v[10:13], v208, v40, v[166:169]
	v_fma_f32 v166, v193, s11, -v211
	v_rndne_f32_e32 v167, v211
	v_fma_f32 v168, v210, s11, -v212
	v_rndne_f32_e32 v169, v212
	v_fmac_f32_e32 v166, 0x32a5705f, v193
	v_sub_f32_e32 v208, v211, v167
	v_fmac_f32_e32 v168, 0x32a5705f, v210
	v_sub_f32_e32 v211, v212, v169
	v_add_f32_e32 v166, v208, v166
	v_cvt_i32_f32_e32 v167, v167
	v_add_f32_e32 v168, v211, v168
	v_exp_f32_e32 v166, v166
	v_cvt_i32_f32_e32 v169, v169
	v_exp_f32_e32 v168, v168
	v_cmp_ngt_f32_e32 vcc, s9, v193
	v_ldexp_f32 v166, v166, v167
	v_mfma_f32_16x16x4_f32 v[10:13], v209, v41, v[10:13]
	v_ldexp_f32 v167, v168, v169
	v_cndmask_b32_e32 v166, 0, v166, vcc
	v_cmp_ngt_f32_e32 vcc, s9, v210
	v_add_u32_e32 v208, 0x60, v0
	s_nop 0
	v_cndmask_b32_e32 v167, 0, v167, vcc
	v_cmp_nlt_f32_e32 vcc, s10, v193
	v_mfma_f32_16x16x4_f32 v[10:13], v202, v34, v[10:13]
	v_add_lshl_u32 v193, v217, s17, 2
	v_cndmask_b32_e32 v166, v190, v166, vcc
	v_cmp_nlt_f32_e32 vcc, s10, v210
	s_nop 1
	v_cndmask_b32_e32 v167, v190, v167, vcc
	v_add_f32_e64 v166, v166, 1.0
	v_add_f32_e64 v167, v167, 1.0
	v_mfma_f32_16x16x4_f32 v[10:13], v203, v35, v[10:13]
	v_frexp_mant_f32_e32 v168, v166
	v_frexp_mant_f32_e32 v169, v167
	v_rcp_f32_e32 v168, v168
	v_rcp_f32_e32 v169, v169
	v_frexp_exp_i32_f32_e32 v166, v166
	v_frexp_exp_i32_f32_e32 v167, v167
	v_sub_u32_e32 v166, 0, v166
	v_sub_u32_e32 v167, 0, v167
	v_ldexp_f32 v166, v168, v166
	v_ldexp_f32 v167, v169, v167
	s_waitcnt vmcnt(1)
	v_pk_add_f32 v[168:169], v[188:189], v[214:215]
	v_pk_mul_f32 v[166:167], v[186:187], v[166:167]
	s_waitcnt vmcnt(0)
	v_pk_add_f32 v[168:169], v[168:169], v[206:207]
	v_mfma_f32_16x16x4_f32 v[10:13], v204, v36, v[10:13]
	v_mul_f32_e32 v186, 0x3d92220c, v168
	v_fma_f32 v186, -v168, v186, s8
	v_mul_f32_e32 v186, v168, v186
	v_mul_f32_e32 v187, 0x3fb8aa3b, v186
	v_fma_f32 v188, v186, s11, -v187
	v_rndne_f32_e32 v189, v187
	v_fmac_f32_e32 v188, 0x32a5705f, v186
	v_sub_f32_e32 v187, v187, v189
	v_add_f32_e32 v187, v187, v188
	v_exp_f32_e32 v187, v187
	v_cvt_i32_f32_e32 v188, v189
	v_lshlrev_b32_e32 v189, 2, v208
	buffer_store_dwordx2 v[166:167], v189, s[12:15], 0 offen
	v_mul_f32_e32 v167, 0x3d92220c, v169
	v_fma_f32 v167, -v169, v167, s8
	v_mul_f32_e32 v167, v169, v167
	v_ldexp_f32 v166, v187, v188
	v_mul_f32_e32 v187, 0x3fb8aa3b, v167
	v_fma_f32 v188, v167, s11, -v187
	v_rndne_f32_e32 v189, v187
	v_fmac_f32_e32 v188, 0x32a5705f, v167
	v_sub_f32_e32 v187, v187, v189
	v_add_f32_e32 v187, v187, v188
	v_exp_f32_e32 v187, v187
	v_cvt_i32_f32_e32 v188, v189
	v_cmp_ngt_f32_e32 vcc, s9, v186
	v_mfma_f32_16x16x4_f32 v[10:13], v205, v37, v[10:13]
	s_nop 0
	v_cndmask_b32_e32 v166, 0, v166, vcc
	v_cmp_nlt_f32_e32 vcc, s10, v186
	v_ldexp_f32 v186, v187, v188
	s_nop 0
	v_cndmask_b32_e32 v166, v190, v166, vcc
	v_cmp_ngt_f32_e32 vcc, s9, v167
	v_mfma_f32_16x16x4_f32 v[150:153], v200, v64, v[150:153]
	s_nop 0
	v_cndmask_b32_e32 v186, 0, v186, vcc
	v_cmp_nlt_f32_e32 vcc, s10, v167
	s_nop 1
	v_cndmask_b32_e32 v167, v190, v186, vcc
	v_add_f32_e64 v166, v166, 1.0
	v_add_f32_e64 v167, v167, 1.0
	v_mfma_f32_16x16x4_f32 v[150:153], v201, v65, v[150:153]
	v_frexp_mant_f32_e32 v186, v166
	v_frexp_mant_f32_e32 v187, v167
	v_rcp_f32_e32 v186, v186
	v_rcp_f32_e32 v187, v187
	v_frexp_exp_i32_f32_e32 v166, v166
	v_frexp_exp_i32_f32_e32 v167, v167
	v_sub_u32_e32 v166, 0, v166
	v_sub_u32_e32 v167, 0, v167
	v_ldexp_f32 v166, v186, v166
	v_ldexp_f32 v167, v187, v167
	v_pk_mul_f32 v[166:167], v[168:169], v[166:167]
	buffer_store_dwordx2 v[166:167], v1, s[12:15], 0 offen offset:392
	v_add_lshl_u32 v1, v216, s18, 2
	s_waitcnt lgkmcnt(0)
	s_barrier
	ds_write2_b32 v191, v10, v11 offset1:32
	ds_write2_b32 v191, v12, v13 offset0:64 offset1:96
	s_waitcnt lgkmcnt(0)
	s_barrier
	buffer_load_dwordx4 v[166:169], v1, s[0:3], 0 offen
	buffer_load_dwordx4 v[186:189], v193, s[4:7], 0 offen
	v_mfma_f32_16x16x4_f32 v[150:153], v194, v6, v[150:153]
	ds_read_b128 v[202:205], v192
	v_mfma_f32_16x16x4_f32 v[10:13], v195, v7, v[150:153]
	s_waitcnt vmcnt(1) lgkmcnt(0)
	s_nop 6
	v_add_f32_e64 v150, v202, v166
	v_add_f32_e64 v151, v203, v167
	v_mfma_f32_16x16x4_f32 v[10:13], v196, v8, v[10:13]
	s_waitcnt vmcnt(0)
	v_add_f32_e64 v166, v150, v186
	v_add_f32_e64 v167, v151, v187
	v_mul_f32_e32 v150, 0x3d92220c, v166
	v_fma_f32 v150, -v166, v150, s8
	v_mul_f32_e32 v186, v166, v150
	v_mul_f32_e32 v187, 0x3fb8aa3b, v186
	v_cmp_ngt_f32_e32 vcc, s9, v186
	v_mfma_f32_16x16x4_f32 v[150:153], v197, v9, v[10:13]
	s_nop 0
	v_fma_f32 v10, v186, s11, -v187
	v_rndne_f32_e32 v11, v187
	v_fmac_f32_e32 v10, 0x32a5705f, v186
	v_sub_f32_e32 v12, v187, v11
	v_add_f32_e32 v10, v12, v10
	v_cvt_i32_f32_e32 v11, v11
	v_exp_f32_e32 v10, v10
	v_mfma_f32_16x16x4_f32 v[86:89], v142, v54, v[86:89]
	v_ldexp_f32 v187, v10, v11
	v_mfma_f32_16x16x4_f32 v[10:13], v198, v54, v[146:149]
	v_mul_f32_e32 v147, 0x3d92220c, v167
	v_fma_f32 v147, -v167, v147, s8
	v_mul_f32_e32 v147, v167, v147
	v_mul_f32_e32 v148, 0x3fb8aa3b, v147
	v_cndmask_b32_e32 v146, 0, v187, vcc
	v_fma_f32 v149, v147, s11, -v148
	v_rndne_f32_e32 v187, v148
	v_mfma_f32_16x16x4_f32 v[10:13], v199, v55, v[10:13]
	v_fmac_f32_e32 v149, 0x32a5705f, v147
	v_sub_f32_e32 v148, v148, v187
	v_add_f32_e32 v148, v148, v149
	v_exp_f32_e32 v148, v148
	v_cvt_i32_f32_e32 v149, v187
	v_cmp_nlt_f32_e32 vcc, s10, v186
	v_ldexp_f32 v148, v148, v149
	v_mfma_f32_16x16x4_f32 v[10:13], v200, v56, v[10:13]
	v_cndmask_b32_e32 v146, v190, v146, vcc
	v_cmp_ngt_f32_e32 vcc, s9, v147
	s_nop 1
	v_cndmask_b32_e32 v148, 0, v148, vcc
	v_cmp_nlt_f32_e32 vcc, s10, v147
	v_mfma_f32_16x16x4_f32 v[10:13], v201, v57, v[10:13]
	s_nop 0
	v_cndmask_b32_e32 v147, v190, v148, vcc
	v_add_f32_e64 v146, v146, 1.0
	v_add_f32_e64 v147, v147, 1.0
	v_frexp_mant_f32_e32 v148, v146
	v_rcp_f32_e32 v148, v148
	v_frexp_exp_i32_f32_e32 v146, v146
	v_sub_u32_e32 v146, 0, v146
	v_mfma_f32_16x16x4_f32 v[10:13], v194, v18, v[10:13]
	v_ldexp_f32 v146, v148, v146
	v_frexp_mant_f32_e32 v148, v147
	v_rcp_f32_e32 v186, v148
	v_pk_add_f32 v[148:149], v[204:205], v[168:169]
	v_frexp_exp_i32_f32_e32 v147, v147
	v_pk_add_f32 v[168:169], v[148:149], v[188:189]
	v_sub_u32_e32 v147, 0, v147
	v_mfma_f32_16x16x4_f32 v[10:13], v195, v19, v[10:13]
	v_mul_f32_e32 v148, 0x3d92220c, v168
	v_fma_f32 v148, -v168, v148, s8
	v_mul_f32_e32 v187, v168, v148
	v_mul_f32_e32 v148, 0x3fb8aa3b, v187
	v_fma_f32 v149, v187, s11, -v148
	v_rndne_f32_e32 v188, v148
	v_fmac_f32_e32 v149, 0x32a5705f, v187
	v_mfma_f32_16x16x4_f32 v[10:13], v196, v20, v[10:13]
	v_sub_f32_e32 v148, v148, v188
	v_add_f32_e32 v148, v148, v149
	v_exp_f32_e32 v148, v148
	v_cvt_i32_f32_e32 v149, v188
	v_ldexp_f32 v147, v186, v147
	v_pk_mul_f32 v[166:167], v[166:167], v[146:147]
	v_mul_f32_e32 v146, 0x3d92220c, v169
	v_fma_f32 v189, -v169, v146, s8
	v_mul_f32_e32 v189, v169, v189
	v_ldexp_f32 v188, v148, v149
	v_mfma_f32_16x16x4_f32 v[146:149], v197, v21, v[10:13]
	v_mul_f32_e32 v10, 0x3fb8aa3b, v189
	v_fma_f32 v11, v189, s11, -v10
	v_rndne_f32_e32 v202, v10
	v_fmac_f32_e32 v11, 0x32a5705f, v189
	v_sub_f32_e32 v10, v10, v202
	v_add_f32_e32 v203, v10, v11
	v_cmp_ngt_f32_e32 vcc, s9, v187
	v_mfma_f32_16x16x4_f32 v[10:13], v198, v50, v[134:137]
	v_exp_f32_e32 v135, v203
	v_cvt_i32_f32_e32 v136, v202
	v_cndmask_b32_e32 v134, 0, v188, vcc
	v_cmp_nlt_f32_e32 vcc, s10, v187
	v_add_lshl_u32 v186, v208, s16, 2
	v_ldexp_f32 v135, v135, v136
	v_cndmask_b32_e32 v134, v190, v134, vcc
	v_cmp_ngt_f32_e32 vcc, s9, v189
	v_mfma_f32_16x16x4_f32 v[10:13], v199, v51, v[10:13]
	s_nop 0
	v_cndmask_b32_e32 v135, 0, v135, vcc
	v_cmp_nlt_f32_e32 vcc, s10, v189
	s_nop 1
	v_cndmask_b32_e32 v135, v190, v135, vcc
	v_add_f32_e64 v134, v134, 1.0
	v_add_f32_e64 v135, v135, 1.0
	v_mfma_f32_16x16x4_f32 v[10:13], v200, v52, v[10:13]
	v_frexp_mant_f32_e32 v136, v134
	v_rcp_f32_e32 v136, v136
	v_frexp_exp_i32_f32_e32 v134, v134
	v_sub_u32_e32 v134, 0, v134
	v_ldexp_f32 v134, v136, v134
	v_frexp_mant_f32_e32 v136, v135
	v_rcp_f32_e32 v136, v136
	v_frexp_exp_i32_f32_e32 v135, v135
	v_sub_u32_e32 v135, 0, v135
	v_mfma_f32_16x16x4_f32 v[10:13], v201, v53, v[10:13]
	v_ldexp_f32 v135, v136, v135
	v_mul_f32_e64 v168, v168, v134
	v_mul_f32_e64 v169, v169, v135
	v_add_u32_e32 v134, 0xffffff80, v1
	buffer_store_dwordx4 v[166:169], v186, s[12:15], 0 offen
	s_waitcnt lgkmcnt(0)
	s_barrier
	ds_write2_b32 v191, v154, v155 offset1:32
	ds_write2_b32 v191, v156, v157 offset0:64 offset1:96
	s_waitcnt lgkmcnt(0)
	s_barrier
	buffer_load_dwordx2 v[134:135], v134, s[0:3], 0 offen
	v_add_u32_e32 v136, 0xffffff80, v193
	buffer_load_dwordx2 v[136:137], v136, s[4:7], 0 offen
	v_add_u32_e32 v154, 0xffffff88, v1
	;; [unrolled: 2-line block ×3, first 2 shown]
	buffer_load_dwordx2 v[168:169], v154, s[4:7], 0 offen
	v_mfma_f32_16x16x4_f32 v[10:13], v194, v26, v[10:13]
	ds_read_b128 v[154:157], v192
	s_waitcnt vmcnt(3) lgkmcnt(0)
	v_add_f32_e64 v134, v154, v134
	v_add_f32_e64 v135, v155, v135
	v_mfma_f32_16x16x4_f32 v[10:13], v195, v27, v[10:13]
	s_waitcnt vmcnt(2)
	v_add_f32_e64 v154, v134, v136
	v_add_f32_e64 v155, v135, v137
	v_mul_f32_e32 v134, 0x3d92220c, v154
	v_fma_f32 v134, -v154, v134, s8
	v_mul_f32_e32 v187, v154, v134
	v_mul_f32_e32 v134, 0x3fb8aa3b, v187
	v_fma_f32 v188, v187, s11, -v134
	v_mfma_f32_16x16x4_f32 v[10:13], v196, v28, v[10:13]
	v_rndne_f32_e32 v189, v134
	v_fmac_f32_e32 v188, 0x32a5705f, v187
	v_sub_f32_e32 v202, v134, v189
	v_cmp_ngt_f32_e32 vcc, s9, v187
	v_mfma_f32_16x16x4_f32 v[134:137], v197, v29, v[10:13]
	s_nop 4
	v_add_f32_e32 v10, v202, v188
	v_exp_f32_e32 v10, v10
	v_cvt_i32_f32_e32 v11, v189
	v_ldexp_f32 v188, v10, v11
	v_mul_f32_e32 v10, 0x3d92220c, v155
	v_fma_f32 v189, -v155, v10, s8
	v_mfma_f32_16x16x4_f32 v[10:13], v198, v38, v[130:133]
	v_mul_f32_e32 v131, v155, v189
	v_mul_f32_e32 v130, 0x3fb8aa3b, v131
	v_fma_f32 v132, v131, s11, -v130
	v_rndne_f32_e32 v133, v130
	v_fmac_f32_e32 v132, 0x32a5705f, v131
	v_sub_f32_e32 v130, v130, v133
	v_add_f32_e32 v130, v130, v132
	v_mfma_f32_16x16x4_f32 v[10:13], v199, v39, v[10:13]
	v_exp_f32_e32 v132, v130
	v_cvt_i32_f32_e32 v133, v133
	v_cndmask_b32_e32 v130, 0, v188, vcc
	v_cmp_nlt_f32_e32 vcc, s10, v187
	v_ldexp_f32 v132, v132, v133
	s_nop 0
	v_cndmask_b32_e32 v130, v190, v130, vcc
	v_mfma_f32_16x16x4_f32 v[10:13], v200, v40, v[10:13]
	v_cmp_ngt_f32_e32 vcc, s9, v131
	s_nop 1
	v_cndmask_b32_e32 v132, 0, v132, vcc
	v_cmp_nlt_f32_e32 vcc, s10, v131
	v_mfma_f32_16x16x4_f32 v[10:13], v201, v41, v[10:13]
	s_nop 0
	v_cndmask_b32_e32 v131, v190, v132, vcc
	v_add_f32_e64 v130, v130, 1.0
	v_add_f32_e64 v131, v131, 1.0
	v_frexp_mant_f32_e32 v132, v130
	v_frexp_mant_f32_e32 v133, v131
	v_rcp_f32_e32 v132, v132
	v_rcp_f32_e32 v133, v133
	v_mfma_f32_16x16x4_f32 v[10:13], v194, v34, v[10:13]
	v_frexp_exp_i32_f32_e32 v130, v130
	v_frexp_exp_i32_f32_e32 v131, v131
	v_sub_u32_e32 v130, 0, v130
	v_sub_u32_e32 v131, 0, v131
	v_ldexp_f32 v130, v132, v130
	v_ldexp_f32 v131, v133, v131
	s_waitcnt vmcnt(1)
	v_pk_add_f32 v[132:133], v[156:157], v[166:167]
	v_mfma_f32_16x16x4_f32 v[10:13], v195, v35, v[10:13]
	v_mul_f32_e64 v130, v154, v130
	v_mul_f32_e64 v131, v155, v131
	s_waitcnt vmcnt(0)
	v_add_f32_e64 v154, v132, v168
	v_add_f32_e64 v155, v133, v169
	v_mul_f32_e32 v132, 0x3d92220c, v154
	v_fma_f32 v132, -v154, v132, s8
	v_mul_f32_e32 v156, v154, v132
	v_mul_f32_e32 v132, 0x3fb8aa3b, v156
	v_mfma_f32_16x16x4_f32 v[10:13], v196, v36, v[10:13]
	v_fma_f32 v133, v156, s11, -v132
	v_rndne_f32_e32 v157, v132
	v_fmac_f32_e32 v133, 0x32a5705f, v156
	v_sub_f32_e32 v132, v132, v157
	v_add_f32_e32 v132, v132, v133
	v_cvt_i32_f32_e32 v133, v157
	v_add_u32_e32 v157, 0xffffff80, v186
	v_exp_f32_e32 v132, v132
	buffer_store_dwordx2 v[130:131], v157, s[12:15], 0 offen
	v_mul_f32_e32 v130, 0x3d92220c, v155
	v_fma_f32 v130, -v155, v130, s8
	v_mul_f32_e32 v166, v155, v130
	v_mul_f32_e32 v167, 0x3fb8aa3b, v166
	v_ldexp_f32 v157, v132, v133
	v_mfma_f32_16x16x4_f32 v[130:133], v197, v37, v[10:13]
	v_fma_f32 v10, v166, s11, -v167
	v_rndne_f32_e32 v11, v167
	v_fmac_f32_e32 v10, 0x32a5705f, v166
	v_sub_f32_e32 v12, v167, v11
	v_add_f32_e32 v10, v12, v10
	v_exp_f32_e32 v167, v10
	v_cvt_i32_f32_e32 v168, v11
	v_cmp_ngt_f32_e32 vcc, s9, v156
	v_mfma_f32_16x16x4_f32 v[10:13], v182, v62, v[126:129]
	v_ldexp_f32 v127, v167, v168
	v_cndmask_b32_e32 v126, 0, v157, vcc
	v_cmp_nlt_f32_e32 vcc, s10, v156
	s_nop 1
	v_cndmask_b32_e32 v126, v190, v126, vcc
	v_cmp_ngt_f32_e32 vcc, s9, v166
	v_mfma_f32_16x16x4_f32 v[10:13], v183, v63, v[10:13]
	s_nop 0
	v_cndmask_b32_e32 v127, 0, v127, vcc
	v_cmp_nlt_f32_e32 vcc, s10, v166
	s_nop 1
	v_cndmask_b32_e32 v127, v190, v127, vcc
	v_add_f32_e64 v126, v126, 1.0
	v_add_f32_e64 v127, v127, 1.0
	v_mfma_f32_16x16x4_f32 v[10:13], v184, v64, v[10:13]
	v_frexp_mant_f32_e32 v128, v126
	v_frexp_mant_f32_e32 v129, v127
	v_rcp_f32_e32 v128, v128
	v_rcp_f32_e32 v129, v129
	v_frexp_exp_i32_f32_e32 v126, v126
	v_frexp_exp_i32_f32_e32 v127, v127
	v_sub_u32_e32 v126, 0, v126
	v_sub_u32_e32 v127, 0, v127
	v_ldexp_f32 v126, v128, v126
	v_ldexp_f32 v127, v129, v127
	v_pk_mul_f32 v[126:127], v[154:155], v[126:127]
	v_add_u32_e32 v128, 0xffffff88, v186
	buffer_store_dwordx2 v[126:127], v128, s[12:15], 0 offen
	v_add_u32_e32 v126, 0xffffff00, v1
	s_waitcnt lgkmcnt(0)
	s_barrier
	ds_write2_b32 v191, v178, v179 offset1:32
	ds_write2_b32 v191, v180, v181 offset0:64 offset1:96
	s_waitcnt lgkmcnt(0)
	s_barrier
	buffer_load_dwordx2 v[126:127], v126, s[0:3], 0 offen
	v_add_u32_e32 v128, 0xffffff00, v193
	buffer_load_dwordx2 v[128:129], v128, s[4:7], 0 offen
	v_add_u32_e32 v1, 0xffffff08, v1
	v_mfma_f32_16x16x4_f32 v[10:13], v185, v65, v[10:13]
	buffer_load_dwordx2 v[166:167], v1, s[0:3], 0 offen
	v_add_u32_e32 v1, 0xffffff08, v193
	buffer_load_dwordx2 v[168:169], v1, s[4:7], 0 offen
	ds_read_b128 v[154:157], v192
	v_add_u32_e32 v180, s16, v0
	s_waitcnt vmcnt(3) lgkmcnt(0)
	v_pk_add_f32 v[126:127], v[154:155], v[126:127]
	v_mfma_f32_16x16x4_f32 v[10:13], v174, v6, v[10:13]
	s_waitcnt vmcnt(2)
	v_add_f32_e64 v154, v126, v128
	v_add_f32_e64 v155, v127, v129
	v_mul_f32_e32 v1, 0x3d92220c, v154
	v_fma_f32 v1, -v154, v1, s8
	v_mul_f32_e32 v1, v154, v1
	v_mul_f32_e32 v126, 0x3fb8aa3b, v1
	v_fma_f32 v127, v1, s11, -v126
	v_mfma_f32_16x16x4_f32 v[10:13], v175, v7, v[10:13]
	v_rndne_f32_e32 v178, v126
	v_fmac_f32_e32 v127, 0x32a5705f, v1
	v_sub_f32_e32 v126, v126, v178
	v_add_f32_e32 v179, v126, v127
	v_cmp_ngt_f32_e32 vcc, s9, v1
	v_mfma_f32_16x16x4_f32 v[10:13], v176, v8, v[10:13]
	v_mfma_f32_16x16x4_f32 v[126:129], v177, v9, v[10:13]
	s_nop 8
	v_exp_f32_e32 v10, v179
	v_cvt_i32_f32_e32 v11, v178
	v_ldexp_f32 v178, v10, v11
	v_mul_f32_e32 v10, 0x3d92220c, v155
	v_fma_f32 v179, -v155, v10, s8
	v_mfma_f32_16x16x4_f32 v[10:13], v182, v54, v[122:125]
	v_mul_f32_e32 v123, v155, v179
	v_mul_f32_e32 v122, 0x3fb8aa3b, v123
	v_fma_f32 v124, v123, s11, -v122
	v_rndne_f32_e32 v125, v122
	v_fmac_f32_e32 v124, 0x32a5705f, v123
	v_sub_f32_e32 v122, v122, v125
	v_add_f32_e32 v122, v122, v124
	v_mfma_f32_16x16x4_f32 v[10:13], v183, v55, v[10:13]
	v_exp_f32_e32 v124, v122
	v_cvt_i32_f32_e32 v125, v125
	v_cndmask_b32_e32 v122, 0, v178, vcc
	v_cmp_nlt_f32_e32 vcc, s10, v1
	v_add_u32_e32 v178, s18, v222
	v_ldexp_f32 v1, v124, v125
	v_cndmask_b32_e32 v122, v190, v122, vcc
	v_mfma_f32_16x16x4_f32 v[10:13], v184, v56, v[10:13]
	v_cmp_ngt_f32_e32 vcc, s9, v123
	v_add_u32_e32 v179, s17, v224
	s_nop 0
	v_cndmask_b32_e32 v1, 0, v1, vcc
	v_cmp_nlt_f32_e32 vcc, s10, v123
	v_mfma_f32_16x16x4_f32 v[10:13], v185, v57, v[10:13]
	s_nop 0
	v_cndmask_b32_e32 v123, v190, v1, vcc
	v_add_f32_e64 v122, v122, 1.0
	v_add_f32_e64 v123, v123, 1.0
	v_frexp_mant_f32_e32 v1, v122
	v_rcp_f32_e32 v1, v1
	v_frexp_mant_f32_e32 v124, v123
	v_frexp_exp_i32_f32_e32 v122, v122
	v_mfma_f32_16x16x4_f32 v[10:13], v174, v18, v[10:13]
	v_rcp_f32_e32 v124, v124
	v_sub_u32_e32 v122, 0, v122
	v_ldexp_f32 v122, v1, v122
	v_frexp_exp_i32_f32_e32 v1, v123
	v_sub_u32_e32 v1, 0, v1
	v_ldexp_f32 v123, v124, v1
	s_waitcnt vmcnt(1)
	v_pk_add_f32 v[124:125], v[156:157], v[166:167]
	v_mfma_f32_16x16x4_f32 v[10:13], v175, v19, v[10:13]
	v_mul_f32_e64 v122, v154, v122
	v_mul_f32_e64 v123, v155, v123
	s_waitcnt vmcnt(0)
	v_add_f32_e64 v154, v124, v168
	v_add_f32_e64 v155, v125, v169
	v_mul_f32_e32 v1, 0x3d92220c, v154
	v_fma_f32 v1, -v154, v1, s8
	v_mul_f32_e32 v1, v154, v1
	v_mul_f32_e32 v124, 0x3fb8aa3b, v1
	v_mfma_f32_16x16x4_f32 v[10:13], v176, v20, v[10:13]
	v_fma_f32 v125, v1, s11, -v124
	v_rndne_f32_e32 v156, v124
	v_fmac_f32_e32 v125, 0x32a5705f, v1
	v_sub_f32_e32 v124, v124, v156
	v_add_f32_e32 v124, v124, v125
	v_cvt_i32_f32_e32 v125, v156
	v_add_u32_e32 v156, 0xffffff00, v186
	v_exp_f32_e32 v124, v124
	buffer_store_dwordx2 v[122:123], v156, s[12:15], 0 offen
	v_mul_f32_e32 v122, 0x3d92220c, v155
	v_fma_f32 v122, -v155, v122, s8
	v_mul_f32_e32 v157, v155, v122
	v_mul_f32_e32 v166, 0x3fb8aa3b, v157
	v_ldexp_f32 v156, v124, v125
	v_mfma_f32_16x16x4_f32 v[122:125], v177, v21, v[10:13]
	v_fma_f32 v10, v157, s11, -v166
	v_rndne_f32_e32 v11, v166
	v_fmac_f32_e32 v10, 0x32a5705f, v157
	v_sub_f32_e32 v12, v166, v11
	v_add_f32_e32 v10, v12, v10
	v_exp_f32_e32 v166, v10
	v_cvt_i32_f32_e32 v167, v11
	v_cmp_ngt_f32_e32 vcc, s9, v1
	v_mfma_f32_16x16x4_f32 v[10:13], v182, v50, v[118:121]
	s_nop 0
	v_cndmask_b32_e32 v118, 0, v156, vcc
	v_cmp_nlt_f32_e32 vcc, s10, v1
	v_ldexp_f32 v1, v166, v167
	s_nop 0
	v_cndmask_b32_e32 v118, v190, v118, vcc
	v_cmp_ngt_f32_e32 vcc, s9, v157
	v_mfma_f32_16x16x4_f32 v[10:13], v183, v51, v[10:13]
	s_nop 0
	v_cndmask_b32_e32 v1, 0, v1, vcc
	v_cmp_nlt_f32_e32 vcc, s10, v157
	s_nop 1
	v_cndmask_b32_e32 v119, v190, v1, vcc
	v_add_f32_e64 v118, v118, 1.0
	v_add_f32_e64 v119, v119, 1.0
	v_mfma_f32_16x16x4_f32 v[10:13], v184, v52, v[10:13]
	v_frexp_mant_f32_e32 v1, v118
	v_rcp_f32_e32 v1, v1
	v_frexp_mant_f32_e32 v120, v119
	v_frexp_exp_i32_f32_e32 v118, v118
	v_rcp_f32_e32 v120, v120
	v_sub_u32_e32 v118, 0, v118
	v_ldexp_f32 v118, v1, v118
	v_frexp_exp_i32_f32_e32 v1, v119
	v_sub_u32_e32 v1, 0, v1
	v_ldexp_f32 v119, v120, v1
	v_pk_mul_f32 v[118:119], v[154:155], v[118:119]
	v_add_u32_e32 v1, 0xffffff08, v186
	buffer_store_dwordx2 v[118:119], v1, s[12:15], 0 offen
	v_lshlrev_b32_e32 v1, 2, v178
	s_waitcnt lgkmcnt(0)
	s_barrier
	ds_write2_b32 v191, v170, v171 offset1:32
	ds_write2_b32 v191, v172, v173 offset0:64 offset1:96
	s_waitcnt lgkmcnt(0)
	s_barrier
	buffer_load_dwordx4 v[154:157], v1, s[0:3], 0 offen
	v_lshlrev_b32_e32 v1, 2, v179
	buffer_load_dwordx4 v[166:169], v1, s[4:7], 0 offen
	v_mfma_f32_16x16x4_f32 v[10:13], v185, v53, v[10:13]
	ds_read_b128 v[170:173], v192
	s_waitcnt vmcnt(1) lgkmcnt(0)
	v_add_f32_e64 v118, v170, v154
	v_add_f32_e64 v119, v171, v155
	v_mfma_f32_16x16x4_f32 v[10:13], v174, v26, v[10:13]
	s_waitcnt vmcnt(0)
	v_add_f32_e64 v154, v118, v166
	v_add_f32_e64 v155, v119, v167
	v_mul_f32_e32 v1, 0x3d92220c, v154
	v_fma_f32 v1, -v154, v1, s8
	v_mul_f32_e32 v1, v154, v1
	v_mul_f32_e32 v118, 0x3fb8aa3b, v1
	v_fma_f32 v119, v1, s11, -v118
	v_mfma_f32_16x16x4_f32 v[10:13], v175, v27, v[10:13]
	v_rndne_f32_e32 v120, v118
	v_fmac_f32_e32 v119, 0x32a5705f, v1
	v_sub_f32_e32 v118, v118, v120
	v_add_f32_e32 v118, v118, v119
	v_exp_f32_e32 v166, v118
	v_cvt_i32_f32_e32 v167, v120
	v_cmp_ngt_f32_e32 vcc, s9, v1
	v_mfma_f32_16x16x4_f32 v[10:13], v176, v28, v[10:13]
	v_mfma_f32_16x16x4_f32 v[118:121], v177, v29, v[10:13]
	s_nop 8
	v_ldexp_f32 v10, v166, v167
	v_cndmask_b32_e32 v166, 0, v10, vcc
	v_mul_f32_e32 v10, 0x3d92220c, v155
	v_fma_f32 v10, -v155, v10, s8
	v_mul_f32_e32 v167, v155, v10
	v_mul_f32_e32 v170, 0x3fb8aa3b, v167
	v_cmp_nlt_f32_e32 vcc, s10, v1
	v_mfma_f32_16x16x4_f32 v[10:13], v182, v38, v[114:117]
	v_fma_f32 v114, v167, s11, -v170
	v_rndne_f32_e32 v115, v170
	v_fmac_f32_e32 v114, 0x32a5705f, v167
	v_sub_f32_e32 v116, v170, v115
	v_add_f32_e32 v114, v116, v114
	v_exp_f32_e32 v116, v114
	v_cvt_i32_f32_e32 v115, v115
	v_mfma_f32_16x16x4_f32 v[10:13], v183, v39, v[10:13]
	v_cndmask_b32_e32 v114, v190, v166, vcc
	v_cmp_ngt_f32_e32 vcc, s9, v167
	v_ldexp_f32 v1, v116, v115
	s_nop 0
	v_cndmask_b32_e32 v1, 0, v1, vcc
	v_cmp_nlt_f32_e32 vcc, s10, v167
	v_mfma_f32_16x16x4_f32 v[10:13], v184, v40, v[10:13]
	s_nop 0
	v_cndmask_b32_e32 v115, v190, v1, vcc
	v_add_f32_e64 v114, v114, 1.0
	v_add_f32_e64 v115, v115, 1.0
	v_frexp_mant_f32_e32 v1, v114
	v_rcp_f32_e32 v1, v1
	v_frexp_exp_i32_f32_e32 v0, v114
	v_sub_u32_e32 v0, 0, v0
	v_mfma_f32_16x16x4_f32 v[10:13], v185, v41, v[10:13]
	v_ldexp_f32 v0, v1, v0
	v_frexp_mant_f32_e32 v1, v115
	v_frexp_exp_i32_f32_e32 v116, v115
	v_add_f32_e64 v114, v172, v156
	v_add_f32_e64 v115, v173, v157
	v_rcp_f32_e32 v1, v1
	v_pk_add_f32 v[156:157], v[114:115], v[168:169]
	v_sub_u32_e32 v116, 0, v116
	v_mfma_f32_16x16x4_f32 v[10:13], v174, v34, v[10:13]
	v_mul_f32_e32 v114, 0x3d92220c, v156
	v_fma_f32 v114, -v156, v114, s8
	v_mul_f32_e32 v166, v156, v114
	v_mul_f32_e32 v114, 0x3fb8aa3b, v166
	v_fma_f32 v115, v166, s11, -v114
	v_rndne_f32_e32 v117, v114
	v_fmac_f32_e32 v115, 0x32a5705f, v166
	v_mfma_f32_16x16x4_f32 v[10:13], v175, v35, v[10:13]
	v_sub_f32_e32 v114, v114, v117
	v_add_f32_e32 v114, v114, v115
	v_exp_f32_e32 v114, v114
	v_cvt_i32_f32_e32 v115, v117
	v_ldexp_f32 v1, v1, v116
	v_pk_mul_f32 v[154:155], v[154:155], v[0:1]
	v_mul_f32_e32 v1, 0x3d92220c, v157
	v_mfma_f32_16x16x4_f32 v[10:13], v176, v36, v[10:13]
	v_fma_f32 v1, -v157, v1, s8
	v_mul_f32_e32 v1, v157, v1
	v_ldexp_f32 v0, v114, v115
	v_mul_f32_e32 v114, 0x3fb8aa3b, v1
	v_fma_f32 v115, v1, s11, -v114
	v_rndne_f32_e32 v167, v114
	v_fmac_f32_e32 v115, 0x32a5705f, v1
	v_sub_f32_e32 v114, v114, v167
	v_add_f32_e32 v168, v114, v115
	v_mfma_f32_16x16x4_f32 v[114:117], v177, v37, v[10:13]
	v_exp_f32_e32 v10, v168
	v_cvt_i32_f32_e32 v11, v167
	v_cmp_ngt_f32_e32 vcc, s9, v166
	s_nop 1
	v_cndmask_b32_e32 v0, 0, v0, vcc
	v_cmp_nlt_f32_e32 vcc, s10, v166
	v_ldexp_f32 v166, v10, v11
	v_mfma_f32_16x16x4_f32 v[10:13], v162, v62, v[110:113]
	v_cndmask_b32_e32 v0, v190, v0, vcc
	v_cmp_ngt_f32_e32 vcc, s9, v1
	v_lshlrev_b32_e32 v111, 2, v180
	s_nop 0
	v_cndmask_b32_e32 v110, 0, v166, vcc
	v_cmp_nlt_f32_e32 vcc, s10, v1
	v_mfma_f32_16x16x4_f32 v[10:13], v163, v63, v[10:13]
	s_nop 0
	v_cndmask_b32_e32 v1, v190, v110, vcc
	v_add_f32_e64 v0, v0, 1.0
	v_add_f32_e64 v1, v1, 1.0
	v_frexp_mant_f32_e32 v110, v0
	v_rcp_f32_e32 v110, v110
	v_frexp_exp_i32_f32_e32 v0, v0
	v_sub_u32_e32 v0, 0, v0
	v_mfma_f32_16x16x4_f32 v[10:13], v164, v64, v[10:13]
	v_ldexp_f32 v0, v110, v0
	v_frexp_mant_f32_e32 v110, v1
	v_rcp_f32_e32 v110, v110
	v_frexp_exp_i32_f32_e32 v1, v1
	v_sub_u32_e32 v1, 0, v1
	v_ldexp_f32 v1, v110, v1
	v_pk_mul_f32 v[156:157], v[156:157], v[0:1]
	v_add_u32_e32 v1, s18, v178
	buffer_store_dwordx4 v[154:157], v111, s[12:15], 0 offen
	s_waitcnt lgkmcnt(0)
	s_barrier
	v_add_u32_e32 v154, s17, v179
	ds_write2_b32 v191, v150, v151 offset1:32
	ds_write2_b32 v191, v152, v153 offset0:64 offset1:96
	v_lshlrev_b32_e32 v151, 2, v1
	s_waitcnt lgkmcnt(0)
	s_barrier
	buffer_load_dwordx4 v[166:169], v151, s[0:3], 0 offen
	v_lshlrev_b32_e32 v152, 2, v154
	buffer_load_dwordx4 v[170:173], v152, s[4:7], 0 offen
	v_mfma_f32_16x16x4_f32 v[10:13], v165, v65, v[10:13]
	ds_read_b128 v[174:177], v192
	s_waitcnt vmcnt(1) lgkmcnt(0)
	v_add_f32_e64 v110, v174, v166
	v_add_f32_e64 v111, v175, v167
	v_mfma_f32_16x16x4_f32 v[10:13], v158, v6, v[10:13]
	s_waitcnt vmcnt(0)
	v_add_f32_e64 v156, v110, v170
	v_add_f32_e64 v157, v111, v171
	v_mul_f32_e32 v0, 0x3d92220c, v156
	v_fma_f32 v0, -v156, v0, s8
	v_mul_f32_e32 v150, v156, v0
	v_mul_f32_e32 v0, 0x3fb8aa3b, v150
	v_fma_f32 v110, v150, s11, -v0
	v_mfma_f32_16x16x4_f32 v[10:13], v159, v7, v[10:13]
	v_rndne_f32_e32 v111, v0
	v_fmac_f32_e32 v110, 0x32a5705f, v150
	v_sub_f32_e32 v0, v0, v111
	v_add_f32_e32 v0, v0, v110
	v_exp_f32_e32 v110, v0
	v_cvt_i32_f32_e32 v111, v111
	v_cmp_ngt_f32_e32 vcc, s9, v150
	v_mfma_f32_16x16x4_f32 v[10:13], v160, v8, v[10:13]
	v_add_u32_e32 v0, s16, v180
	v_ldexp_f32 v153, v110, v111
	v_mul_f32_e32 v110, 0x3d92220c, v157
	v_fma_f32 v155, -v157, v110, s8
	v_mul_f32_e32 v155, v157, v155
	v_mfma_f32_16x16x4_f32 v[110:113], v161, v9, v[10:13]
	s_nop 3
	v_mul_f32_e32 v10, 0x3fb8aa3b, v155
	v_fma_f32 v11, v155, s11, -v10
	v_rndne_f32_e32 v166, v10
	v_fmac_f32_e32 v11, 0x32a5705f, v155
	v_sub_f32_e32 v10, v10, v166
	v_add_f32_e32 v167, v10, v11
	v_mfma_f32_16x16x4_f32 v[10:13], v162, v54, v[106:109]
	v_exp_f32_e32 v107, v167
	v_cvt_i32_f32_e32 v108, v166
	v_cndmask_b32_e32 v106, 0, v153, vcc
	v_cmp_nlt_f32_e32 vcc, s10, v150
	v_ldexp_f32 v107, v107, v108
	s_nop 0
	v_cndmask_b32_e32 v106, v190, v106, vcc
	v_mfma_f32_16x16x4_f32 v[10:13], v163, v55, v[10:13]
	v_cmp_ngt_f32_e32 vcc, s9, v155
	s_nop 1
	v_cndmask_b32_e32 v107, 0, v107, vcc
	v_cmp_nlt_f32_e32 vcc, s10, v155
	v_mfma_f32_16x16x4_f32 v[10:13], v164, v56, v[10:13]
	s_nop 0
	v_cndmask_b32_e32 v107, v190, v107, vcc
	v_add_f32_e64 v106, v106, 1.0
	v_add_f32_e64 v107, v107, 1.0
	v_frexp_mant_f32_e32 v108, v106
	v_rcp_f32_e32 v108, v108
	v_frexp_exp_i32_f32_e32 v106, v106
	v_sub_u32_e32 v106, 0, v106
	v_mfma_f32_16x16x4_f32 v[10:13], v165, v57, v[10:13]
	v_ldexp_f32 v106, v108, v106
	v_frexp_mant_f32_e32 v108, v107
	v_rcp_f32_e32 v108, v108
	v_frexp_exp_i32_f32_e32 v107, v107
	v_sub_u32_e32 v107, 0, v107
	v_ldexp_f32 v107, v108, v107
	v_mfma_f32_16x16x4_f32 v[10:13], v158, v18, v[10:13]
	v_add_f32_e64 v108, v176, v168
	v_add_f32_e64 v109, v177, v169
	v_mul_f32_e64 v166, v156, v106
	v_mul_f32_e64 v167, v157, v107
	v_add_f32_e64 v168, v108, v172
	v_add_f32_e64 v169, v109, v173
	v_mul_f32_e32 v108, 0x3d92220c, v168
	v_fma_f32 v108, -v168, v108, s8
	v_mul_f32_e32 v153, v168, v108
	v_mfma_f32_16x16x4_f32 v[10:13], v159, v19, v[10:13]
	v_mul_f32_e32 v108, 0x3fb8aa3b, v153
	v_fma_f32 v109, v153, s11, -v108
	v_rndne_f32_e32 v150, v108
	v_fmac_f32_e32 v109, 0x32a5705f, v153
	v_sub_f32_e32 v108, v108, v150
	v_add_f32_e32 v108, v108, v109
	v_exp_f32_e32 v108, v108
	v_cvt_i32_f32_e32 v109, v150
	v_mul_f32_e32 v106, 0x3d92220c, v169
	v_fma_f32 v106, -v169, v106, s8
	v_mul_f32_e32 v157, v169, v106
	v_mfma_f32_16x16x4_f32 v[10:13], v160, v20, v[10:13]
	v_mul_f32_e32 v106, 0x3fb8aa3b, v157
	v_ldexp_f32 v155, v108, v109
	v_fma_f32 v107, v157, s11, -v106
	v_rndne_f32_e32 v108, v106
	v_fmac_f32_e32 v107, 0x32a5705f, v157
	v_sub_f32_e32 v106, v106, v108
	v_add_f32_e32 v106, v106, v107
	v_exp_f32_e32 v170, v106
	v_cvt_i32_f32_e32 v171, v108
	v_cmp_ngt_f32_e32 vcc, s9, v153
	v_mfma_f32_16x16x4_f32 v[106:109], v161, v21, v[10:13]
	v_lshlrev_b32_e32 v150, 2, v0
	v_cndmask_b32_e32 v10, 0, v155, vcc
	v_cmp_nlt_f32_e32 vcc, s10, v153
	s_nop 1
	v_cndmask_b32_e32 v156, v190, v10, vcc
	v_ldexp_f32 v10, v170, v171
	v_cmp_ngt_f32_e32 vcc, s9, v157
	v_mfma_f32_16x16x4_f32 v[90:93], v142, v62, v[90:93]
	s_nop 0
	v_cndmask_b32_e32 v153, 0, v10, vcc
	v_cmp_nlt_f32_e32 vcc, s10, v157
	s_nop 1
	v_cndmask_b32_e32 v157, v190, v153, vcc
	v_mfma_f32_16x16x4_f32 v[10:13], v162, v50, v[102:105]
	v_add_f32_e64 v102, v156, 1.0
	v_add_f32_e64 v103, v157, 1.0
	v_frexp_mant_f32_e32 v104, v102
	v_frexp_mant_f32_e32 v105, v103
	v_rcp_f32_e32 v104, v104
	v_rcp_f32_e32 v105, v105
	v_frexp_exp_i32_f32_e32 v102, v102
	v_frexp_exp_i32_f32_e32 v103, v103
	v_sub_u32_e32 v102, 0, v102
	v_sub_u32_e32 v103, 0, v103
	v_ldexp_f32 v102, v104, v102
	v_ldexp_f32 v103, v105, v103
	v_pk_mul_f32 v[168:169], v[168:169], v[102:103]
	buffer_store_dwordx4 v[166:169], v150, s[12:15], 0 offen
	s_waitcnt lgkmcnt(0)
	s_barrier
	ds_write2_b32 v191, v146, v147 offset1:32
	ds_write2_b32 v191, v148, v149 offset0:64 offset1:96
	s_waitcnt lgkmcnt(0)
	s_barrier
	buffer_load_dwordx4 v[146:149], v151, s[0:3], 0 offen offset:128
	buffer_load_dwordx4 v[166:169], v152, s[4:7], 0 offen offset:128
	v_mfma_f32_16x16x4_f32 v[10:13], v163, v51, v[10:13]
	ds_read_b128 v[170:173], v192
	s_waitcnt vmcnt(1) lgkmcnt(0)
	v_add_f32_e64 v102, v170, v146
	v_add_f32_e64 v103, v171, v147
	v_mfma_f32_16x16x4_f32 v[10:13], v164, v52, v[10:13]
	s_waitcnt vmcnt(0)
	v_add_f32_e64 v146, v102, v166
	v_add_f32_e64 v147, v103, v167
	v_mul_f32_e32 v102, 0x3d92220c, v146
	v_fma_f32 v102, -v146, v102, s8
	v_mul_f32_e32 v153, v146, v102
	v_mul_f32_e32 v102, 0x3fb8aa3b, v153
	v_fma_f32 v103, v153, s11, -v102
	v_mfma_f32_16x16x4_f32 v[10:13], v165, v53, v[10:13]
	v_rndne_f32_e32 v104, v102
	v_fmac_f32_e32 v103, 0x32a5705f, v153
	v_sub_f32_e32 v102, v102, v104
	v_add_f32_e32 v102, v102, v103
	v_exp_f32_e32 v102, v102
	v_cvt_i32_f32_e32 v103, v104
	v_cmp_ngt_f32_e32 vcc, s9, v153
	v_mfma_f32_16x16x4_f32 v[10:13], v158, v26, v[10:13]
	v_ldexp_f32 v155, v102, v103
	v_mul_f32_e32 v102, 0x3d92220c, v147
	v_fma_f32 v102, -v147, v102, s8
	v_mul_f32_e32 v157, v147, v102
	v_mul_f32_e32 v102, 0x3fb8aa3b, v157
	v_fma_f32 v103, v157, s11, -v102
	v_mfma_f32_16x16x4_f32 v[10:13], v159, v27, v[10:13]
	v_rndne_f32_e32 v104, v102
	v_fmac_f32_e32 v103, 0x32a5705f, v157
	v_sub_f32_e32 v102, v102, v104
	v_add_f32_e32 v102, v102, v103
	v_exp_f32_e32 v166, v102
	v_cvt_i32_f32_e32 v167, v104
	v_mfma_f32_16x16x4_f32 v[10:13], v160, v28, v[10:13]
	v_mfma_f32_16x16x4_f32 v[102:105], v161, v29, v[10:13]
	s_nop 8
	v_cndmask_b32_e32 v10, 0, v155, vcc
	v_cmp_nlt_f32_e32 vcc, s10, v153
	s_nop 1
	v_cndmask_b32_e32 v156, v190, v10, vcc
	v_ldexp_f32 v10, v166, v167
	v_cmp_ngt_f32_e32 vcc, s9, v157
	v_mfma_f32_16x16x4_f32 v[90:93], v143, v63, v[90:93]
	s_nop 0
	v_cndmask_b32_e32 v153, 0, v10, vcc
	v_cmp_nlt_f32_e32 vcc, s10, v157
	s_nop 1
	v_cndmask_b32_e32 v157, v190, v153, vcc
	v_mfma_f32_16x16x4_f32 v[10:13], v162, v38, v[98:101]
	v_add_f32_e64 v98, v156, 1.0
	v_add_f32_e64 v99, v157, 1.0
	v_frexp_mant_f32_e32 v100, v98
	v_rcp_f32_e32 v100, v100
	v_frexp_exp_i32_f32_e32 v98, v98
	v_sub_u32_e32 v98, 0, v98
	v_ldexp_f32 v156, v100, v98
	v_mfma_f32_16x16x4_f32 v[10:13], v163, v39, v[10:13]
	v_add_f32_e64 v100, v172, v148
	v_add_f32_e64 v101, v173, v149
	v_frexp_mant_f32_e32 v98, v99
	v_add_f32_e64 v148, v100, v168
	v_add_f32_e64 v149, v101, v169
	v_rcp_f32_e32 v98, v98
	v_mul_f32_e32 v100, 0x3d92220c, v148
	v_fma_f32 v100, -v148, v100, s8
	v_mul_f32_e32 v100, v148, v100
	v_mfma_f32_16x16x4_f32 v[10:13], v164, v40, v[10:13]
	v_mul_f32_e32 v101, 0x3fb8aa3b, v100
	v_fma_f32 v153, v100, s11, -v101
	v_rndne_f32_e32 v155, v101
	v_fmac_f32_e32 v153, 0x32a5705f, v100
	v_sub_f32_e32 v101, v101, v155
	v_add_f32_e32 v101, v101, v153
	v_frexp_exp_i32_f32_e32 v99, v99
	v_mfma_f32_16x16x4_f32 v[10:13], v165, v41, v[10:13]
	v_exp_f32_e32 v101, v101
	v_cvt_i32_f32_e32 v153, v155
	v_sub_u32_e32 v99, 0, v99
	v_ldexp_f32 v157, v98, v99
	v_mul_f32_e32 v99, 0x3d92220c, v149
	v_fma_f32 v99, -v149, v99, s8
	v_mul_f32_e32 v99, v149, v99
	v_mfma_f32_16x16x4_f32 v[10:13], v158, v34, v[10:13]
	v_ldexp_f32 v98, v101, v153
	v_mul_f32_e32 v101, 0x3fb8aa3b, v99
	v_fma_f32 v153, v99, s11, -v101
	v_rndne_f32_e32 v155, v101
	v_fmac_f32_e32 v153, 0x32a5705f, v99
	v_sub_f32_e32 v101, v101, v155
	v_add_f32_e32 v101, v101, v153
	v_mfma_f32_16x16x4_f32 v[10:13], v159, v35, v[10:13]
	v_exp_f32_e32 v101, v101
	v_cvt_i32_f32_e32 v153, v155
	v_cmp_ngt_f32_e32 vcc, s9, v100
	s_nop 1
	v_cndmask_b32_e32 v98, 0, v98, vcc
	v_cmp_nlt_f32_e32 vcc, s10, v100
	v_mfma_f32_16x16x4_f32 v[10:13], v160, v36, v[10:13]
	v_ldexp_f32 v100, v101, v153
	v_cndmask_b32_e32 v98, v190, v98, vcc
	v_cmp_ngt_f32_e32 vcc, s9, v99
	s_nop 1
	v_cndmask_b32_e32 v100, 0, v100, vcc
	v_cmp_nlt_f32_e32 vcc, s10, v99
	v_mfma_f32_16x16x4_f32 v[90:93], v144, v64, v[90:93]
	s_nop 0
	v_cndmask_b32_e32 v99, v190, v100, vcc
	v_add_f32_e64 v158, v98, 1.0
	v_add_f32_e64 v159, v99, 1.0
	v_frexp_mant_f32_e32 v98, v158
	v_rcp_f32_e32 v153, v98
	v_mfma_f32_16x16x4_f32 v[98:101], v161, v37, v[10:13]
	v_frexp_mant_f32_e32 v13, v159
	v_rcp_f32_e32 v13, v13
	v_pk_mul_f32 v[10:11], v[146:147], v[156:157]
	v_frexp_exp_i32_f32_e32 v12, v158
	v_frexp_exp_i32_f32_e32 v146, v159
	v_sub_u32_e32 v12, 0, v12
	v_sub_u32_e32 v146, 0, v146
	v_ldexp_f32 v12, v153, v12
	v_ldexp_f32 v13, v13, v146
	v_pk_mul_f32 v[12:13], v[148:149], v[12:13]
	buffer_store_dwordx4 v[10:13], v150, s[12:15], 0 offen offset:128
	s_waitcnt lgkmcnt(0)
	s_barrier
	ds_write2_b32 v191, v134, v135 offset1:32
	ds_write2_b32 v191, v136, v137 offset0:64 offset1:96
	s_waitcnt lgkmcnt(0)
	s_barrier
	buffer_load_dwordx4 v[10:13], v151, s[0:3], 0 offen offset:256
	buffer_load_dwordx4 v[134:137], v152, s[4:7], 0 offen offset:256
	ds_read_b128 v[146:149], v192
	v_mfma_f32_16x16x4_f32 v[90:93], v145, v65, v[90:93]
	s_waitcnt vmcnt(1) lgkmcnt(0)
	v_add_f32_e64 v10, v146, v10
	v_add_f32_e64 v11, v147, v11
	s_waitcnt vmcnt(0)
	v_add_f32_e64 v134, v10, v134
	v_add_f32_e64 v135, v11, v135
	v_mfma_f32_16x16x4_f32 v[90:93], v138, v6, v[90:93]
	v_mul_f32_e32 v10, 0x3d92220c, v134
	v_fma_f32 v10, -v134, v10, s8
	v_mul_f32_e32 v10, v134, v10
	v_mul_f32_e32 v11, 0x3fb8aa3b, v10
	v_fma_f32 v146, v10, s11, -v11
	v_rndne_f32_e32 v147, v11
	v_fmac_f32_e32 v146, 0x32a5705f, v10
	v_sub_f32_e32 v11, v11, v147
	v_add_f32_e32 v11, v11, v146
	v_exp_f32_e32 v11, v11
	v_cvt_i32_f32_e32 v146, v147
	v_cmp_ngt_f32_e32 vcc, s9, v10
	v_mfma_f32_16x16x4_f32 v[70:73], v94, v62, v[70:73]
	v_ldexp_f32 v11, v11, v146
	v_mul_f32_e32 v146, 0x3d92220c, v135
	v_fma_f32 v146, -v135, v146, s8
	v_mul_f32_e32 v146, v135, v146
	v_mul_f32_e32 v147, 0x3fb8aa3b, v146
	v_fma_f32 v153, v146, s11, -v147
	v_rndne_f32_e32 v155, v147
	v_fmac_f32_e32 v153, 0x32a5705f, v146
	v_sub_f32_e32 v147, v147, v155
	v_add_f32_e32 v147, v147, v153
	v_exp_f32_e32 v147, v147
	v_cvt_i32_f32_e32 v153, v155
	v_cndmask_b32_e32 v11, 0, v11, vcc
	v_cmp_nlt_f32_e32 vcc, s10, v10
	v_add_u32_e32 v155, 0x60, v154
	v_mfma_f32_16x16x4_f32 v[42:45], v94, v38, v[42:45]
	v_cndmask_b32_e32 v10, v190, v11, vcc
	v_ldexp_f32 v11, v147, v153
	v_cmp_ngt_f32_e32 vcc, s9, v146
	s_nop 1
	v_cndmask_b32_e32 v11, 0, v11, vcc
	v_cmp_nlt_f32_e32 vcc, s10, v146
	v_mfma_f32_16x16x4_f32 v[70:73], v95, v63, v[70:73]
	s_nop 0
	v_cndmask_b32_e32 v11, v190, v11, vcc
	v_add_f32_e64 v10, v10, 1.0
	v_add_f32_e64 v11, v11, 1.0
	v_frexp_mant_f32_e32 v146, v10
	v_rcp_f32_e32 v146, v146
	v_frexp_exp_i32_f32_e32 v10, v10
	v_sub_u32_e32 v10, 0, v10
	v_mfma_f32_16x16x4_f32 v[42:45], v95, v39, v[42:45]
	v_ldexp_f32 v146, v146, v10
	v_frexp_mant_f32_e32 v10, v11
	v_frexp_exp_i32_f32_e32 v11, v11
	v_sub_u32_e32 v147, 0, v11
	v_rcp_f32_e32 v153, v10
	v_pk_add_f32 v[10:11], v[148:149], v[12:13]
	v_ldexp_f32 v147, v153, v147
	v_pk_add_f32 v[136:137], v[10:11], v[136:137]
	v_pk_mul_f32 v[134:135], v[134:135], v[146:147]
	v_mul_f32_e32 v10, 0x3d92220c, v136
	v_fma_f32 v10, -v136, v10, s8
	v_mul_f32_e32 v148, v136, v10
	v_mfma_f32_16x16x4_f32 v[10:13], v143, v55, v[86:89]
	v_mul_f32_e32 v149, 0x3fb8aa3b, v148
	v_fma_f32 v86, v148, s11, -v149
	v_rndne_f32_e32 v87, v149
	v_fmac_f32_e32 v86, 0x32a5705f, v148
	v_sub_f32_e32 v88, v149, v87
	v_add_f32_e32 v86, v88, v86
	v_exp_f32_e32 v86, v86
	v_mfma_f32_16x16x4_f32 v[10:13], v144, v56, v[10:13]
	v_cvt_i32_f32_e32 v87, v87
	v_cmp_ngt_f32_e32 vcc, s9, v148
	v_add_u32_e32 v153, 0x60, v1
	v_ldexp_f32 v86, v86, v87
	v_mul_f32_e32 v87, 0x3d92220c, v137
	v_fma_f32 v87, -v137, v87, s8
	v_mfma_f32_16x16x4_f32 v[10:13], v145, v57, v[10:13]
	v_mul_f32_e32 v87, v137, v87
	v_mul_f32_e32 v88, 0x3fb8aa3b, v87
	v_fma_f32 v89, v87, s11, -v88
	v_rndne_f32_e32 v146, v88
	v_fmac_f32_e32 v89, 0x32a5705f, v87
	v_sub_f32_e32 v88, v88, v146
	v_add_f32_e32 v88, v88, v89
	v_mfma_f32_16x16x4_f32 v[10:13], v138, v18, v[10:13]
	v_exp_f32_e32 v88, v88
	v_cvt_i32_f32_e32 v89, v146
	v_cndmask_b32_e32 v86, 0, v86, vcc
	v_cmp_nlt_f32_e32 vcc, s10, v148
	v_ldexp_f32 v88, v88, v89
	s_nop 0
	v_cndmask_b32_e32 v86, v190, v86, vcc
	v_mfma_f32_16x16x4_f32 v[10:13], v139, v19, v[10:13]
	v_cmp_ngt_f32_e32 vcc, s9, v87
	s_nop 1
	v_cndmask_b32_e32 v88, 0, v88, vcc
	v_cmp_nlt_f32_e32 vcc, s10, v87
	s_nop 1
	v_cndmask_b32_e32 v87, v190, v88, vcc
	v_mfma_f32_16x16x4_f32 v[10:13], v140, v20, v[10:13]
	v_add_f32_e64 v86, v86, 1.0
	v_add_f32_e64 v87, v87, 1.0
	v_frexp_mant_f32_e32 v88, v86
	v_frexp_mant_f32_e32 v89, v87
	v_rcp_f32_e32 v88, v88
	v_rcp_f32_e32 v89, v89
	v_frexp_exp_i32_f32_e32 v86, v86
	v_frexp_exp_i32_f32_e32 v87, v87
	v_sub_u32_e32 v86, 0, v86
	v_sub_u32_e32 v87, 0, v87
	v_ldexp_f32 v86, v88, v86
	v_ldexp_f32 v87, v89, v87
	v_pk_mul_f32 v[136:137], v[136:137], v[86:87]
	v_mfma_f32_16x16x4_f32 v[86:89], v141, v21, v[10:13]
	v_lshlrev_b32_e32 v10, 2, v153
	buffer_store_dwordx4 v[134:137], v150, s[12:15], 0 offen offset:256
	s_waitcnt lgkmcnt(0)
	s_barrier
	ds_write2_b32 v191, v130, v131 offset1:32
	ds_write2_b32 v191, v132, v133 offset0:64 offset1:96
	s_waitcnt lgkmcnt(0)
	s_barrier
	buffer_load_dwordx2 v[134:135], v10, s[0:3], 0 offen
	v_lshlrev_b32_e32 v10, 2, v155
	buffer_load_dwordx2 v[136:137], v10, s[4:7], 0 offen
	v_mfma_f32_16x16x4_f32 v[10:13], v142, v50, v[78:81]
	buffer_load_dwordx2 v[146:147], v151, s[0:3], 0 offen offset:392
	buffer_load_dwordx2 v[148:149], v152, s[4:7], 0 offen offset:392
	ds_read_b128 v[130:133], v192
	s_waitcnt vmcnt(3) lgkmcnt(0)
	v_add_f32_e64 v78, v130, v134
	v_add_f32_e64 v79, v131, v135
	v_mfma_f32_16x16x4_f32 v[10:13], v143, v51, v[10:13]
	s_waitcnt vmcnt(2)
	v_add_f32_e64 v130, v78, v136
	v_add_f32_e64 v131, v79, v137
	v_add_u32_e32 v136, 0x60, v0
	v_mul_f32_e32 v78, 0x3d92220c, v130
	v_fma_f32 v78, -v130, v78, s8
	v_mul_f32_e32 v78, v130, v78
	v_mul_f32_e32 v79, 0x3fb8aa3b, v78
	v_fma_f32 v80, v78, s11, -v79
	v_mfma_f32_16x16x4_f32 v[10:13], v144, v52, v[10:13]
	v_rndne_f32_e32 v81, v79
	v_fmac_f32_e32 v80, 0x32a5705f, v78
	v_sub_f32_e32 v79, v79, v81
	v_add_f32_e32 v79, v79, v80
	v_exp_f32_e32 v79, v79
	v_cvt_i32_f32_e32 v80, v81
	v_cmp_ngt_f32_e32 vcc, s9, v78
	v_mfma_f32_16x16x4_f32 v[10:13], v145, v53, v[10:13]
	v_ldexp_f32 v79, v79, v80
	v_mul_f32_e32 v80, 0x3d92220c, v131
	v_fma_f32 v80, -v131, v80, s8
	v_mul_f32_e32 v80, v131, v80
	v_mul_f32_e32 v81, 0x3fb8aa3b, v80
	v_fma_f32 v134, v80, s11, -v81
	v_mfma_f32_16x16x4_f32 v[10:13], v138, v26, v[10:13]
	v_rndne_f32_e32 v135, v81
	v_fmac_f32_e32 v134, 0x32a5705f, v80
	v_sub_f32_e32 v81, v81, v135
	v_add_f32_e32 v81, v81, v134
	v_exp_f32_e32 v81, v81
	v_cvt_i32_f32_e32 v134, v135
	v_cndmask_b32_e32 v79, 0, v79, vcc
	v_mfma_f32_16x16x4_f32 v[10:13], v139, v27, v[10:13]
	v_cmp_nlt_f32_e32 vcc, s10, v78
	s_nop 1
	v_cndmask_b32_e32 v78, v190, v79, vcc
	v_ldexp_f32 v79, v81, v134
	v_cmp_ngt_f32_e32 vcc, s9, v80
	v_mfma_f32_16x16x4_f32 v[10:13], v140, v28, v[10:13]
	s_nop 0
	v_cndmask_b32_e32 v79, 0, v79, vcc
	v_cmp_nlt_f32_e32 vcc, s10, v80
	s_nop 1
	v_cndmask_b32_e32 v79, v190, v79, vcc
	v_add_f32_e64 v134, v78, 1.0
	v_add_f32_e64 v135, v79, 1.0
	v_frexp_mant_f32_e32 v78, v134
	v_rcp_f32_e32 v137, v78
	v_mfma_f32_16x16x4_f32 v[78:81], v141, v29, v[10:13]
	v_frexp_mant_f32_e32 v11, v135
	v_frexp_exp_i32_f32_e32 v134, v134
	v_rcp_f32_e32 v11, v11
	v_sub_u32_e32 v10, 0, v134
	v_ldexp_f32 v134, v137, v10
	v_frexp_exp_i32_f32_e32 v10, v135
	v_sub_u32_e32 v10, 0, v10
	v_ldexp_f32 v135, v11, v10
	v_mfma_f32_16x16x4_f32 v[10:13], v142, v38, v[74:77]
	s_waitcnt vmcnt(1)
	v_add_f32_e64 v76, v132, v146
	v_add_f32_e64 v77, v133, v147
	v_mul_f32_e64 v74, v130, v134
	v_mul_f32_e64 v75, v131, v135
	s_waitcnt vmcnt(0)
	v_pk_add_f32 v[76:77], v[76:77], v[148:149]
	v_add_lshl_u32 v134, v153, s18, 2
	v_mul_f32_e32 v130, 0x3d92220c, v76
	v_fma_f32 v130, -v76, v130, s8
	v_mul_f32_e32 v130, v76, v130
	v_mfma_f32_16x16x4_f32 v[10:13], v143, v39, v[10:13]
	v_mul_f32_e32 v131, 0x3fb8aa3b, v130
	v_fma_f32 v132, v130, s11, -v131
	v_rndne_f32_e32 v133, v131
	v_fmac_f32_e32 v132, 0x32a5705f, v130
	v_sub_f32_e32 v131, v131, v133
	v_add_f32_e32 v131, v131, v132
	v_exp_f32_e32 v131, v131
	v_mfma_f32_16x16x4_f32 v[10:13], v144, v40, v[10:13]
	v_cvt_i32_f32_e32 v132, v133
	v_lshlrev_b32_e32 v133, 2, v136
	buffer_store_dwordx2 v[74:75], v133, s[12:15], 0 offen
	v_mul_f32_e32 v75, 0x3d92220c, v77
	v_fma_f32 v75, -v77, v75, s8
	v_mul_f32_e32 v75, v77, v75
	v_ldexp_f32 v74, v131, v132
	v_mfma_f32_16x16x4_f32 v[10:13], v145, v41, v[10:13]
	v_mul_f32_e32 v131, 0x3fb8aa3b, v75
	v_fma_f32 v132, v75, s11, -v131
	v_rndne_f32_e32 v133, v131
	v_fmac_f32_e32 v132, 0x32a5705f, v75
	v_sub_f32_e32 v131, v131, v133
	v_add_f32_e32 v131, v131, v132
	v_exp_f32_e32 v131, v131
	v_mfma_f32_16x16x4_f32 v[10:13], v138, v34, v[10:13]
	v_cvt_i32_f32_e32 v132, v133
	v_cmp_ngt_f32_e32 vcc, s9, v130
	v_add_lshl_u32 v135, v155, s17, 2
	v_add_lshl_u32 v136, v136, s16, 2
	v_cndmask_b32_e32 v74, 0, v74, vcc
	v_cmp_nlt_f32_e32 vcc, s10, v130
	v_ldexp_f32 v130, v131, v132
	v_mfma_f32_16x16x4_f32 v[10:13], v139, v35, v[10:13]
	v_cndmask_b32_e32 v74, v190, v74, vcc
	v_cmp_ngt_f32_e32 vcc, s9, v75
	s_nop 1
	v_cndmask_b32_e32 v130, 0, v130, vcc
	v_cmp_nlt_f32_e32 vcc, s10, v75
	v_mfma_f32_16x16x4_f32 v[10:13], v140, v36, v[10:13]
	s_nop 0
	v_cndmask_b32_e32 v75, v190, v130, vcc
	v_add_f32_e64 v74, v74, 1.0
	v_add_f32_e64 v75, v75, 1.0
	v_frexp_mant_f32_e32 v130, v74
	v_frexp_mant_f32_e32 v131, v75
	v_rcp_f32_e32 v130, v130
	v_rcp_f32_e32 v131, v131
	v_frexp_exp_i32_f32_e32 v74, v74
	v_frexp_exp_i32_f32_e32 v75, v75
	v_sub_u32_e32 v74, 0, v74
	v_sub_u32_e32 v75, 0, v75
	v_ldexp_f32 v74, v130, v74
	v_ldexp_f32 v75, v131, v75
	v_pk_mul_f32 v[74:75], v[76:77], v[74:75]
	buffer_store_dwordx2 v[74:75], v150, s[12:15], 0 offen offset:392
	v_mfma_f32_16x16x4_f32 v[74:77], v141, v37, v[10:13]
	s_waitcnt lgkmcnt(0)
	s_barrier
	ds_write2_b32 v191, v114, v115 offset1:32
	ds_write2_b32 v191, v116, v117 offset0:64 offset1:96
	s_waitcnt lgkmcnt(0)
	s_barrier
	buffer_load_dwordx4 v[10:13], v134, s[0:3], 0 offen
	buffer_load_dwordx4 v[114:117], v135, s[4:7], 0 offen
	ds_read_b128 v[130:133], v192
	v_mfma_f32_16x16x4_f32 v[70:73], v96, v64, v[70:73]
	s_waitcnt vmcnt(1) lgkmcnt(0)
	v_add_f32_e64 v10, v130, v10
	v_add_f32_e64 v11, v131, v11
	s_waitcnt vmcnt(0)
	v_add_f32_e64 v114, v10, v114
	v_add_f32_e64 v115, v11, v115
	v_mfma_f32_16x16x4_f32 v[42:45], v96, v40, v[42:45]
	v_mul_f32_e32 v10, 0x3d92220c, v114
	v_fma_f32 v10, -v114, v10, s8
	v_mul_f32_e32 v10, v114, v10
	v_mul_f32_e32 v11, 0x3fb8aa3b, v10
	v_fma_f32 v130, v10, s11, -v11
	v_rndne_f32_e32 v131, v11
	v_fmac_f32_e32 v130, 0x32a5705f, v10
	v_sub_f32_e32 v11, v11, v131
	v_add_f32_e32 v11, v11, v130
	v_exp_f32_e32 v11, v11
	v_cvt_i32_f32_e32 v130, v131
	v_cmp_ngt_f32_e32 vcc, s9, v10
	v_mfma_f32_16x16x4_f32 v[70:73], v97, v65, v[70:73]
	v_ldexp_f32 v11, v11, v130
	v_mul_f32_e32 v130, 0x3d92220c, v115
	v_fma_f32 v130, -v115, v130, s8
	v_mul_f32_e32 v130, v115, v130
	v_mul_f32_e32 v131, 0x3fb8aa3b, v130
	v_fma_f32 v137, v130, s11, -v131
	v_rndne_f32_e32 v138, v131
	v_fmac_f32_e32 v137, 0x32a5705f, v130
	v_sub_f32_e32 v131, v131, v138
	v_add_f32_e32 v131, v131, v137
	v_exp_f32_e32 v131, v131
	v_cvt_i32_f32_e32 v137, v138
	v_cndmask_b32_e32 v11, 0, v11, vcc
	v_cmp_nlt_f32_e32 vcc, s10, v10
	v_mfma_f32_16x16x4_f32 v[42:45], v97, v41, v[42:45]
	s_nop 0
	v_cndmask_b32_e32 v10, v190, v11, vcc
	v_ldexp_f32 v11, v131, v137
	v_cmp_ngt_f32_e32 vcc, s9, v130
	s_nop 1
	v_cndmask_b32_e32 v11, 0, v11, vcc
	v_cmp_nlt_f32_e32 vcc, s10, v130
	v_mfma_f32_16x16x4_f32 v[70:73], v82, v6, v[70:73]
	s_nop 0
	v_cndmask_b32_e32 v11, v190, v11, vcc
	v_add_f32_e64 v10, v10, 1.0
	v_add_f32_e64 v11, v11, 1.0
	v_frexp_mant_f32_e32 v130, v10
	v_rcp_f32_e32 v130, v130
	v_frexp_exp_i32_f32_e32 v10, v10
	v_sub_u32_e32 v10, 0, v10
	v_mfma_f32_16x16x4_f32 v[42:45], v82, v34, v[42:45]
	v_ldexp_f32 v130, v130, v10
	v_frexp_mant_f32_e32 v10, v11
	v_rcp_f32_e32 v10, v10
	v_frexp_exp_i32_f32_e32 v11, v11
	v_sub_u32_e32 v11, 0, v11
	v_ldexp_f32 v131, v10, v11
	v_pk_add_f32 v[10:11], v[132:133], v[12:13]
	v_mfma_f32_16x16x4_f32 v[70:73], v83, v7, v[70:73]
	v_add_f32_e64 v116, v10, v116
	v_add_f32_e64 v117, v11, v117
	v_mul_f32_e32 v10, 0x3d92220c, v116
	v_fma_f32 v10, -v116, v10, s8
	v_mul_f32_e32 v132, v116, v10
	v_mul_f32_e32 v133, 0x3fb8aa3b, v132
	v_cmp_ngt_f32_e32 vcc, s9, v132
	v_mfma_f32_16x16x4_f32 v[10:13], v94, v54, v[66:69]
	v_fma_f32 v66, v132, s11, -v133
	v_rndne_f32_e32 v67, v133
	v_fmac_f32_e32 v66, 0x32a5705f, v132
	v_sub_f32_e32 v68, v133, v67
	v_add_f32_e32 v66, v68, v66
	v_exp_f32_e32 v68, v66
	v_cvt_i32_f32_e32 v69, v67
	v_pk_mul_f32 v[66:67], v[114:115], v[130:131]
	v_mfma_f32_16x16x4_f32 v[10:13], v95, v55, v[10:13]
	v_ldexp_f32 v68, v68, v69
	v_mul_f32_e32 v69, 0x3d92220c, v117
	v_fma_f32 v69, -v117, v69, s8
	v_mul_f32_e32 v69, v117, v69
	v_mul_f32_e32 v114, 0x3fb8aa3b, v69
	v_fma_f32 v115, v69, s11, -v114
	v_rndne_f32_e32 v130, v114
	v_fmac_f32_e32 v115, 0x32a5705f, v69
	v_sub_f32_e32 v114, v114, v130
	v_add_f32_e32 v114, v114, v115
	v_exp_f32_e32 v114, v114
	v_cvt_i32_f32_e32 v115, v130
	v_cndmask_b32_e32 v68, 0, v68, vcc
	v_cmp_nlt_f32_e32 vcc, s10, v132
	v_mfma_f32_16x16x4_f32 v[10:13], v96, v56, v[10:13]
	v_ldexp_f32 v114, v114, v115
	v_cndmask_b32_e32 v68, v190, v68, vcc
	v_cmp_ngt_f32_e32 vcc, s9, v69
	s_nop 1
	v_cndmask_b32_e32 v114, 0, v114, vcc
	v_cmp_nlt_f32_e32 vcc, s10, v69
	v_mfma_f32_16x16x4_f32 v[10:13], v97, v57, v[10:13]
	s_nop 0
	v_cndmask_b32_e32 v69, v190, v114, vcc
	v_add_f32_e64 v68, v68, 1.0
	v_add_f32_e64 v69, v69, 1.0
	v_frexp_mant_f32_e32 v114, v68
	v_frexp_mant_f32_e32 v115, v69
	v_rcp_f32_e32 v114, v114
	v_rcp_f32_e32 v115, v115
	v_frexp_exp_i32_f32_e32 v68, v68
	v_frexp_exp_i32_f32_e32 v69, v69
	v_sub_u32_e32 v68, 0, v68
	v_sub_u32_e32 v69, 0, v69
	v_ldexp_f32 v68, v114, v68
	v_ldexp_f32 v69, v115, v69
	v_pk_mul_f32 v[68:69], v[116:117], v[68:69]
	buffer_store_dwordx4 v[66:69], v136, s[12:15], 0 offen
	s_waitcnt lgkmcnt(0)
	s_barrier
	v_add_u32_e32 v66, 0xffffff80, v134
	ds_write2_b32 v191, v118, v119 offset1:32
	ds_write2_b32 v191, v120, v121 offset0:64 offset1:96
	s_waitcnt lgkmcnt(0)
	s_barrier
	buffer_load_dwordx2 v[118:119], v66, s[0:3], 0 offen
	v_add_u32_e32 v66, 0xffffff80, v135
	buffer_load_dwordx2 v[120:121], v66, s[4:7], 0 offen
	v_add_u32_e32 v66, 0xffffff88, v134
	;; [unrolled: 2-line block ×3, first 2 shown]
	buffer_load_dwordx2 v[132:133], v66, s[4:7], 0 offen
	v_mfma_f32_16x16x4_f32 v[10:13], v82, v18, v[10:13]
	ds_read_b128 v[114:117], v192
	v_mfma_f32_16x16x4_f32 v[10:13], v83, v19, v[10:13]
	v_mfma_f32_16x16x4_f32 v[10:13], v84, v20, v[10:13]
	v_mfma_f32_16x16x4_f32 v[66:69], v85, v21, v[10:13]
	s_waitcnt vmcnt(3) lgkmcnt(0)
	s_nop 7
	v_add_f32_e64 v10, v114, v118
	v_add_f32_e64 v11, v115, v119
	v_mfma_f32_16x16x4_f32 v[42:45], v83, v35, v[42:45]
	s_waitcnt vmcnt(2)
	v_add_f32_e64 v114, v10, v120
	v_add_f32_e64 v115, v11, v121
	v_mul_f32_e32 v10, 0x3d92220c, v114
	v_fma_f32 v10, -v114, v10, s8
	v_mul_f32_e32 v118, v114, v10
	v_mul_f32_e32 v10, 0x3fb8aa3b, v118
	v_fma_f32 v11, v118, s11, -v10
	v_rndne_f32_e32 v12, v10
	v_fmac_f32_e32 v11, 0x32a5705f, v118
	v_sub_f32_e32 v10, v10, v12
	v_add_f32_e32 v10, v10, v11
	v_exp_f32_e32 v119, v10
	v_cvt_i32_f32_e32 v120, v12
	v_mfma_f32_16x16x4_f32 v[10:13], v94, v50, v[58:61]
	v_mul_f32_e32 v59, 0x3d92220c, v115
	v_fma_f32 v59, -v115, v59, s8
	v_mul_f32_e32 v59, v115, v59
	v_mul_f32_e32 v60, 0x3fb8aa3b, v59
	v_ldexp_f32 v58, v119, v120
	v_fma_f32 v61, v59, s11, -v60
	v_rndne_f32_e32 v119, v60
	v_fmac_f32_e32 v61, 0x32a5705f, v59
	v_sub_f32_e32 v60, v60, v119
	v_add_f32_e32 v60, v60, v61
	v_exp_f32_e32 v60, v60
	v_cvt_i32_f32_e32 v61, v119
	v_cmp_ngt_f32_e32 vcc, s9, v118
	v_mfma_f32_16x16x4_f32 v[10:13], v95, v51, v[10:13]
	v_ldexp_f32 v60, v60, v61
	v_cndmask_b32_e32 v58, 0, v58, vcc
	v_cmp_nlt_f32_e32 vcc, s10, v118
	s_nop 1
	v_cndmask_b32_e32 v58, v190, v58, vcc
	v_cmp_ngt_f32_e32 vcc, s9, v59
	v_mfma_f32_16x16x4_f32 v[10:13], v96, v52, v[10:13]
	s_nop 0
	v_cndmask_b32_e32 v60, 0, v60, vcc
	v_cmp_nlt_f32_e32 vcc, s10, v59
	s_nop 1
	v_cndmask_b32_e32 v59, v190, v60, vcc
	v_add_f32_e64 v58, v58, 1.0
	v_add_f32_e64 v59, v59, 1.0
	v_mfma_f32_16x16x4_f32 v[10:13], v97, v53, v[10:13]
	v_frexp_mant_f32_e32 v60, v58
	v_frexp_mant_f32_e32 v61, v59
	v_rcp_f32_e32 v60, v60
	v_rcp_f32_e32 v61, v61
	v_frexp_exp_i32_f32_e32 v58, v58
	v_frexp_exp_i32_f32_e32 v59, v59
	v_sub_u32_e32 v58, 0, v58
	v_sub_u32_e32 v59, 0, v59
	v_ldexp_f32 v58, v60, v58
	v_ldexp_f32 v59, v61, v59
	s_waitcnt vmcnt(1)
	v_pk_add_f32 v[60:61], v[116:117], v[130:131]
	v_pk_mul_f32 v[58:59], v[114:115], v[58:59]
	s_waitcnt vmcnt(0)
	v_pk_add_f32 v[60:61], v[60:61], v[132:133]
	v_add_u32_e32 v114, 0xffffff80, v136
	v_mul_f32_e32 v116, 0x3d92220c, v60
	v_fma_f32 v116, -v60, v116, s8
	v_mul_f32_e32 v116, v60, v116
	v_mul_f32_e32 v117, 0x3fb8aa3b, v116
	v_fma_f32 v118, v116, s11, -v117
	v_rndne_f32_e32 v119, v117
	v_fmac_f32_e32 v118, 0x32a5705f, v116
	v_sub_f32_e32 v117, v117, v119
	v_add_f32_e32 v117, v117, v118
	v_exp_f32_e32 v117, v117
	v_cvt_i32_f32_e32 v118, v119
	buffer_store_dwordx2 v[58:59], v114, s[12:15], 0 offen
	v_mul_f32_e32 v59, 0x3d92220c, v61
	v_fma_f32 v59, -v61, v59, s8
	v_mul_f32_e32 v59, v61, v59
	v_mul_f32_e32 v114, 0x3fb8aa3b, v59
	v_ldexp_f32 v58, v117, v118
	v_fma_f32 v115, v59, s11, -v114
	v_rndne_f32_e32 v117, v114
	v_fmac_f32_e32 v115, 0x32a5705f, v59
	v_sub_f32_e32 v114, v114, v117
	v_add_f32_e32 v114, v114, v115
	v_exp_f32_e32 v114, v114
	v_cvt_i32_f32_e32 v115, v117
	v_cmp_ngt_f32_e32 vcc, s9, v116
	v_mfma_f32_16x16x4_f32 v[10:13], v82, v26, v[10:13]
	v_ldexp_f32 v114, v114, v115
	v_cndmask_b32_e32 v58, 0, v58, vcc
	v_cmp_nlt_f32_e32 vcc, s10, v116
	s_nop 1
	v_cndmask_b32_e32 v58, v190, v58, vcc
	v_cmp_ngt_f32_e32 vcc, s9, v59
	v_mfma_f32_16x16x4_f32 v[10:13], v83, v27, v[10:13]
	s_nop 0
	v_cndmask_b32_e32 v114, 0, v114, vcc
	v_cmp_nlt_f32_e32 vcc, s10, v59
	s_nop 1
	v_cndmask_b32_e32 v59, v190, v114, vcc
	v_add_f32_e64 v58, v58, 1.0
	v_add_f32_e64 v59, v59, 1.0
	v_mfma_f32_16x16x4_f32 v[10:13], v84, v28, v[10:13]
	v_frexp_mant_f32_e32 v114, v58
	v_frexp_mant_f32_e32 v115, v59
	v_rcp_f32_e32 v114, v114
	v_rcp_f32_e32 v115, v115
	v_frexp_exp_i32_f32_e32 v58, v58
	v_frexp_exp_i32_f32_e32 v59, v59
	v_sub_u32_e32 v58, 0, v58
	v_sub_u32_e32 v59, 0, v59
	v_ldexp_f32 v58, v114, v58
	v_ldexp_f32 v59, v115, v59
	v_pk_mul_f32 v[58:59], v[60:61], v[58:59]
	v_add_u32_e32 v60, 0xffffff88, v136
	buffer_store_dwordx2 v[58:59], v60, s[12:15], 0 offen
	v_add_u32_e32 v58, 0xffffff00, v134
	s_waitcnt lgkmcnt(0)
	s_barrier
	ds_write2_b32 v191, v122, v123 offset1:32
	ds_write2_b32 v191, v124, v125 offset0:64 offset1:96
	s_waitcnt lgkmcnt(0)
	s_barrier
	buffer_load_dwordx2 v[114:115], v58, s[0:3], 0 offen
	v_add_u32_e32 v58, 0xffffff00, v135
	buffer_load_dwordx2 v[116:117], v58, s[4:7], 0 offen
	v_add_u32_e32 v58, 0xffffff08, v134
	;; [unrolled: 2-line block ×3, first 2 shown]
	buffer_load_dwordx2 v[120:121], v58, s[4:7], 0 offen
	ds_read_b128 v[58:61], v192
	v_mfma_f32_16x16x4_f32 v[70:73], v84, v8, v[70:73]
	s_waitcnt vmcnt(3) lgkmcnt(0)
	v_add_f32_e64 v58, v58, v114
	v_add_f32_e64 v59, v59, v115
	v_mfma_f32_16x16x4_f32 v[70:73], v85, v9, v[70:73]
	s_waitcnt vmcnt(2)
	v_add_f32_e64 v58, v58, v116
	v_add_f32_e64 v59, v59, v117
	s_waitcnt vmcnt(1)
	v_add_f32_e64 v60, v60, v118
	v_add_f32_e64 v61, v61, v119
	v_mul_f32_e32 v114, 0x3d92220c, v58
	v_fma_f32 v114, -v58, v114, s8
	v_mul_f32_e32 v114, v58, v114
	v_mul_f32_e32 v115, 0x3fb8aa3b, v114
	v_fma_f32 v116, v114, s11, -v115
	v_rndne_f32_e32 v117, v115
	v_fmac_f32_e32 v116, 0x32a5705f, v114
	v_sub_f32_e32 v115, v115, v117
	v_add_f32_e32 v115, v115, v116
	v_exp_f32_e32 v115, v115
	v_cvt_i32_f32_e32 v116, v117
	v_cmp_ngt_f32_e32 vcc, s9, v114
	s_waitcnt vmcnt(0)
	v_pk_add_f32 v[60:61], v[60:61], v[120:121]
	v_mfma_f32_16x16x4_f32 v[14:17], v46, v54, v[14:17]
	v_ldexp_f32 v115, v115, v116
	v_mul_f32_e32 v116, 0x3d92220c, v59
	v_fma_f32 v116, -v59, v116, s8
	v_mul_f32_e32 v116, v59, v116
	v_mul_f32_e32 v117, 0x3fb8aa3b, v116
	v_fma_f32 v122, v116, s11, -v117
	v_rndne_f32_e32 v123, v117
	v_fmac_f32_e32 v122, 0x32a5705f, v116
	v_sub_f32_e32 v117, v117, v123
	v_add_f32_e32 v117, v117, v122
	v_exp_f32_e32 v117, v117
	v_cvt_i32_f32_e32 v122, v123
	v_cndmask_b32_e32 v115, 0, v115, vcc
	v_cmp_nlt_f32_e32 vcc, s10, v114
	v_add_u32_e32 v123, s17, v154
	v_mfma_f32_16x16x4_f32 v[14:17], v47, v55, v[14:17]
	v_cndmask_b32_e32 v114, v190, v115, vcc
	v_ldexp_f32 v115, v117, v122
	v_cmp_ngt_f32_e32 vcc, s9, v116
	v_add_u32_e32 v122, s18, v1
	v_lshlrev_b32_e32 v1, 2, v122
	v_cndmask_b32_e32 v115, 0, v115, vcc
	v_cmp_nlt_f32_e32 vcc, s10, v116
	v_mfma_f32_16x16x4_f32 v[90:93], v139, v7, v[90:93]
	s_nop 0
	v_cndmask_b32_e32 v115, v190, v115, vcc
	v_add_f32_e64 v114, v114, 1.0
	v_add_f32_e64 v115, v115, 1.0
	v_frexp_mant_f32_e32 v116, v114
	v_rcp_f32_e32 v116, v116
	v_frexp_exp_i32_f32_e32 v114, v114
	v_frexp_mant_f32_e32 v117, v115
	v_sub_u32_e32 v114, 0, v114
	v_rcp_f32_e32 v117, v117
	v_ldexp_f32 v114, v116, v114
	v_mul_f32_e32 v116, 0x3d92220c, v60
	v_frexp_exp_i32_f32_e32 v115, v115
	v_fma_f32 v116, -v60, v116, s8
	v_sub_u32_e32 v115, 0, v115
	v_mul_f32_e32 v116, v60, v116
	v_ldexp_f32 v115, v117, v115
	v_mul_f32_e32 v117, 0x3fb8aa3b, v116
	v_fma_f32 v118, v116, s11, -v117
	v_rndne_f32_e32 v119, v117
	v_fmac_f32_e32 v118, 0x32a5705f, v116
	v_sub_f32_e32 v117, v117, v119
	v_add_f32_e32 v117, v117, v118
	v_pk_mul_f32 v[58:59], v[58:59], v[114:115]
	v_add_u32_e32 v114, 0xffffff00, v136
	v_exp_f32_e32 v117, v117
	v_cvt_i32_f32_e32 v118, v119
	buffer_store_dwordx2 v[58:59], v114, s[12:15], 0 offen
	v_mul_f32_e32 v59, 0x3d92220c, v61
	v_fma_f32 v59, -v61, v59, s8
	v_mul_f32_e32 v59, v61, v59
	v_mul_f32_e32 v114, 0x3fb8aa3b, v59
	v_ldexp_f32 v58, v117, v118
	v_fma_f32 v115, v59, s11, -v114
	v_rndne_f32_e32 v117, v114
	v_fmac_f32_e32 v115, 0x32a5705f, v59
	v_sub_f32_e32 v114, v114, v117
	v_add_f32_e32 v114, v114, v115
	v_exp_f32_e32 v114, v114
	v_cvt_i32_f32_e32 v115, v117
	v_cmp_ngt_f32_e32 vcc, s9, v116
	v_mfma_f32_16x16x4_f32 v[90:93], v140, v8, v[90:93]
	v_ldexp_f32 v114, v114, v115
	v_cndmask_b32_e32 v58, 0, v58, vcc
	v_cmp_nlt_f32_e32 vcc, s10, v116
	s_nop 1
	v_cndmask_b32_e32 v58, v190, v58, vcc
	v_cmp_ngt_f32_e32 vcc, s9, v59
	v_mfma_f32_16x16x4_f32 v[90:93], v141, v9, v[90:93]
	s_nop 0
	v_cndmask_b32_e32 v114, 0, v114, vcc
	v_cmp_nlt_f32_e32 vcc, s10, v59
	s_nop 1
	v_cndmask_b32_e32 v59, v190, v114, vcc
	v_add_f32_e64 v58, v58, 1.0
	v_add_f32_e64 v59, v59, 1.0
	v_mfma_f32_16x16x4_f32 v[2:5], v46, v38, v[248:251]
	v_frexp_mant_f32_e32 v114, v58
	v_frexp_mant_f32_e32 v115, v59
	v_rcp_f32_e32 v114, v114
	v_rcp_f32_e32 v115, v115
	v_frexp_exp_i32_f32_e32 v58, v58
	v_frexp_exp_i32_f32_e32 v59, v59
	v_sub_u32_e32 v58, 0, v58
	v_sub_u32_e32 v59, 0, v59
	v_ldexp_f32 v58, v114, v58
	v_ldexp_f32 v59, v115, v59
	v_pk_mul_f32 v[58:59], v[60:61], v[58:59]
	v_add_u32_e32 v60, 0xffffff08, v136
	buffer_store_dwordx2 v[58:59], v60, s[12:15], 0 offen
	s_waitcnt lgkmcnt(0)
	s_barrier
	ds_write2_b32 v191, v126, v127 offset1:32
	ds_write2_b32 v191, v128, v129 offset0:64 offset1:96
	s_waitcnt lgkmcnt(0)
	s_barrier
	buffer_load_dwordx4 v[58:61], v1, s[0:3], 0 offen
	v_lshlrev_b32_e32 v1, 2, v123
	buffer_load_dwordx4 v[114:117], v1, s[4:7], 0 offen
	ds_read_b128 v[118:121], v192
	v_mfma_f32_16x16x4_f32 v[2:5], v47, v39, v[2:5]
	s_waitcnt vmcnt(1) lgkmcnt(0)
	v_add_f32_e64 v58, v118, v58
	v_add_f32_e64 v59, v119, v59
	;; [unrolled: 1-line block ×4, first 2 shown]
	s_waitcnt vmcnt(0)
	v_pk_add_f32 v[58:59], v[58:59], v[114:115]
	v_pk_add_f32 v[60:61], v[60:61], v[116:117]
	v_mul_f32_e32 v1, 0x3d92220c, v58
	v_fma_f32 v1, -v58, v1, s8
	v_mul_f32_e32 v1, v58, v1
	v_mul_f32_e32 v114, 0x3fb8aa3b, v1
	v_fma_f32 v115, v1, s11, -v114
	v_rndne_f32_e32 v118, v114
	v_fmac_f32_e32 v115, 0x32a5705f, v1
	v_sub_f32_e32 v114, v114, v118
	v_add_f32_e32 v114, v114, v115
	v_exp_f32_e32 v114, v114
	v_cvt_i32_f32_e32 v115, v118
	v_cmp_ngt_f32_e32 vcc, s9, v1
	v_mfma_f32_16x16x4_f32 v[2:5], v48, v40, v[2:5]
	v_ldexp_f32 v114, v114, v115
	v_mul_f32_e32 v115, 0x3d92220c, v59
	v_fma_f32 v115, -v59, v115, s8
	v_mul_f32_e32 v115, v59, v115
	v_mul_f32_e32 v118, 0x3fb8aa3b, v115
	v_fma_f32 v119, v115, s11, -v118
	v_rndne_f32_e32 v124, v118
	v_fmac_f32_e32 v119, 0x32a5705f, v115
	v_sub_f32_e32 v118, v118, v124
	v_add_f32_e32 v118, v118, v119
	v_exp_f32_e32 v118, v118
	v_cvt_i32_f32_e32 v119, v124
	v_cndmask_b32_e32 v114, 0, v114, vcc
	v_cmp_nlt_f32_e32 vcc, s10, v1
	v_add_u32_e32 v124, s16, v0
	v_ldexp_f32 v1, v118, v119
	v_cndmask_b32_e32 v114, v190, v114, vcc
	v_cmp_ngt_f32_e32 vcc, s9, v115
	v_mfma_f32_16x16x4_f32 v[2:5], v49, v41, v[2:5]
	s_nop 0
	v_cndmask_b32_e32 v1, 0, v1, vcc
	v_cmp_nlt_f32_e32 vcc, s10, v115
	s_nop 1
	v_cndmask_b32_e32 v115, v190, v1, vcc
	v_add_f32_e64 v114, v114, 1.0
	v_add_f32_e64 v115, v115, 1.0
	v_mfma_f32_16x16x4_f32 v[2:5], v22, v34, v[2:5]
	v_frexp_mant_f32_e32 v1, v114
	v_rcp_f32_e32 v1, v1
	v_frexp_exp_i32_f32_e32 v0, v114
	v_sub_u32_e32 v0, 0, v0
	v_frexp_exp_i32_f32_e32 v114, v115
	v_ldexp_f32 v0, v1, v0
	v_frexp_mant_f32_e32 v1, v115
	v_mul_f32_e32 v115, 0x3d92220c, v60
	v_fma_f32 v115, -v60, v115, s8
	v_mul_f32_e32 v115, v60, v115
	v_rcp_f32_e32 v1, v1
	v_mul_f32_e32 v116, 0x3fb8aa3b, v115
	v_fma_f32 v117, v115, s11, -v116
	v_rndne_f32_e32 v118, v116
	v_fmac_f32_e32 v117, 0x32a5705f, v115
	v_sub_f32_e32 v116, v116, v118
	v_sub_u32_e32 v114, 0, v114
	v_add_f32_e32 v116, v116, v117
	v_exp_f32_e32 v116, v116
	v_cvt_i32_f32_e32 v117, v118
	v_ldexp_f32 v1, v1, v114
	v_pk_mul_f32 v[58:59], v[58:59], v[0:1]
	v_mul_f32_e32 v1, 0x3d92220c, v61
	v_fma_f32 v1, -v61, v1, s8
	v_mul_f32_e32 v1, v61, v1
	v_ldexp_f32 v0, v116, v117
	v_mul_f32_e32 v116, 0x3fb8aa3b, v1
	v_fma_f32 v117, v1, s11, -v116
	v_rndne_f32_e32 v118, v116
	v_fmac_f32_e32 v117, 0x32a5705f, v1
	v_sub_f32_e32 v116, v116, v118
	v_add_f32_e32 v116, v116, v117
	v_exp_f32_e32 v116, v116
	v_cvt_i32_f32_e32 v117, v118
	v_cmp_ngt_f32_e32 vcc, s9, v115
	v_lshlrev_b32_e32 v114, 2, v124
	v_mfma_f32_16x16x4_f32 v[2:5], v23, v35, v[2:5]
	v_cndmask_b32_e32 v0, 0, v0, vcc
	v_cmp_nlt_f32_e32 vcc, s10, v115
	v_ldexp_f32 v115, v116, v117
	s_nop 0
	v_cndmask_b32_e32 v0, v190, v0, vcc
	v_cmp_ngt_f32_e32 vcc, s9, v1
	v_mfma_f32_16x16x4_f32 v[2:5], v24, v36, v[2:5]
	s_nop 0
	v_cndmask_b32_e32 v115, 0, v115, vcc
	v_cmp_nlt_f32_e32 vcc, s10, v1
	s_nop 1
	v_cndmask_b32_e32 v1, v190, v115, vcc
	v_add_f32_e64 v0, v0, 1.0
	v_add_f32_e64 v1, v1, 1.0
	v_frexp_mant_f32_e32 v115, v0
	v_frexp_mant_f32_e32 v116, v1
	v_rcp_f32_e32 v115, v115
	v_rcp_f32_e32 v116, v116
	v_frexp_exp_i32_f32_e32 v0, v0
	v_frexp_exp_i32_f32_e32 v1, v1
	v_sub_u32_e32 v0, 0, v0
	v_sub_u32_e32 v1, 0, v1
	v_ldexp_f32 v0, v115, v0
	v_ldexp_f32 v1, v116, v1
	v_pk_mul_f32 v[60:61], v[60:61], v[0:1]
	v_add_u32_e32 v0, s18, v122
	v_add_u32_e32 v1, s17, v123
	v_lshlrev_b32_e32 v122, 2, v0
	buffer_store_dwordx4 v[58:61], v114, s[12:15], 0 offen
	s_waitcnt lgkmcnt(0)
	s_barrier
	ds_write2_b32 v191, v110, v111 offset1:32
	ds_write2_b32 v191, v112, v113 offset0:64 offset1:96
	s_waitcnt lgkmcnt(0)
	s_barrier
	buffer_load_dwordx4 v[110:113], v122, s[0:3], 0 offen
	v_lshlrev_b32_e32 v123, 2, v1
	buffer_load_dwordx4 v[114:117], v123, s[4:7], 0 offen
	ds_read_b128 v[118:121], v192
	v_mfma_f32_16x16x4_f32 v[2:5], v25, v37, v[2:5]
	s_waitcnt vmcnt(1) lgkmcnt(0)
	v_add_f32_e64 v58, v118, v110
	v_add_f32_e64 v59, v119, v111
	s_waitcnt vmcnt(0)
	v_add_f32_e64 v114, v58, v114
	v_add_f32_e64 v115, v59, v115
	v_mul_f32_e32 v58, 0x3d92220c, v114
	v_fma_f32 v58, -v114, v58, s8
	v_mul_f32_e32 v110, v114, v58
	v_mul_f32_e32 v58, 0x3fb8aa3b, v110
	v_fma_f32 v59, v110, s11, -v58
	v_rndne_f32_e32 v60, v58
	v_fmac_f32_e32 v59, 0x32a5705f, v110
	v_sub_f32_e32 v58, v58, v60
	v_add_f32_e32 v58, v58, v59
	v_exp_f32_e32 v111, v58
	v_cvt_i32_f32_e32 v118, v60
	v_mfma_f32_16x16x4_f32 v[58:61], v85, v29, v[10:13]
	v_mul_f32_e32 v11, 0x3d92220c, v115
	v_fma_f32 v11, -v115, v11, s8
	v_mul_f32_e32 v11, v115, v11
	v_mul_f32_e32 v12, 0x3fb8aa3b, v11
	v_ldexp_f32 v10, v111, v118
	v_fma_f32 v13, v11, s11, -v12
	v_rndne_f32_e32 v111, v12
	v_fmac_f32_e32 v13, 0x32a5705f, v11
	v_sub_f32_e32 v12, v12, v111
	v_add_f32_e32 v12, v12, v13
	v_exp_f32_e32 v12, v12
	v_cvt_i32_f32_e32 v13, v111
	v_cmp_ngt_f32_e32 vcc, s9, v110
	v_ldexp_f32 v12, v12, v13
	s_nop 0
	v_cndmask_b32_e32 v10, 0, v10, vcc
	v_cmp_nlt_f32_e32 vcc, s10, v110
	v_add_u32_e32 v110, s16, v124
	s_nop 0
	v_cndmask_b32_e32 v10, v190, v10, vcc
	v_cmp_ngt_f32_e32 vcc, s9, v11
	s_nop 1
	v_cndmask_b32_e32 v12, 0, v12, vcc
	v_cmp_nlt_f32_e32 vcc, s10, v11
	s_nop 1
	v_cndmask_b32_e32 v11, v190, v12, vcc
	v_pk_add_f32 v[10:11], v[10:11], 1.0 op_sel_hi:[1,0]
	s_nop 0
	v_frexp_mant_f32_e32 v12, v10
	v_rcp_f32_e32 v12, v12
	v_frexp_exp_i32_f32_e32 v10, v10
	v_sub_u32_e32 v10, 0, v10
	v_ldexp_f32 v10, v12, v10
	v_frexp_mant_f32_e32 v12, v11
	v_rcp_f32_e32 v111, v12
	v_pk_add_f32 v[12:13], v[120:121], v[112:113]
	v_frexp_exp_i32_f32_e32 v11, v11
	v_pk_add_f32 v[12:13], v[12:13], v[116:117]
	v_sub_u32_e32 v11, 0, v11
	v_mul_f32_e32 v112, 0x3d92220c, v12
	v_fma_f32 v112, -v12, v112, s8
	v_mul_f32_e32 v112, v12, v112
	v_mul_f32_e32 v113, 0x3fb8aa3b, v112
	v_fma_f32 v116, v112, s11, -v113
	v_rndne_f32_e32 v117, v113
	v_fmac_f32_e32 v116, 0x32a5705f, v112
	v_sub_f32_e32 v113, v113, v117
	v_add_f32_e32 v113, v113, v116
	v_ldexp_f32 v11, v111, v11
	v_exp_f32_e32 v113, v113
	v_cvt_i32_f32_e32 v116, v117
	v_pk_mul_f32 v[10:11], v[114:115], v[10:11]
	v_mul_f32_e32 v114, 0x3d92220c, v13
	v_fma_f32 v114, -v13, v114, s8
	v_mul_f32_e32 v114, v13, v114
	v_mul_f32_e32 v115, 0x3fb8aa3b, v114
	v_ldexp_f32 v113, v113, v116
	v_fma_f32 v116, v114, s11, -v115
	v_rndne_f32_e32 v117, v115
	v_fmac_f32_e32 v116, 0x32a5705f, v114
	v_sub_f32_e32 v115, v115, v117
	v_add_f32_e32 v115, v115, v116
	v_exp_f32_e32 v115, v115
	v_cvt_i32_f32_e32 v116, v117
	v_cmp_ngt_f32_e32 vcc, s9, v112
	v_lshlrev_b32_e32 v111, 2, v110
	s_nop 0
	v_cndmask_b32_e32 v113, 0, v113, vcc
	v_cmp_nlt_f32_e32 vcc, s10, v112
	s_nop 1
	v_cndmask_b32_e32 v112, v190, v113, vcc
	v_ldexp_f32 v113, v115, v116
	v_cmp_ngt_f32_e32 vcc, s9, v114
	s_nop 1
	v_cndmask_b32_e32 v113, 0, v113, vcc
	v_cmp_nlt_f32_e32 vcc, s10, v114
	s_nop 1
	v_cndmask_b32_e32 v113, v190, v113, vcc
	v_pk_add_f32 v[112:113], v[112:113], 1.0 op_sel_hi:[1,0]
	s_nop 0
	v_frexp_mant_f32_e32 v114, v112
	v_frexp_mant_f32_e32 v115, v113
	v_rcp_f32_e32 v114, v114
	v_rcp_f32_e32 v115, v115
	v_frexp_exp_i32_f32_e32 v112, v112
	v_frexp_exp_i32_f32_e32 v113, v113
	v_sub_u32_e32 v112, 0, v112
	v_sub_u32_e32 v113, 0, v113
	v_ldexp_f32 v112, v114, v112
	v_ldexp_f32 v113, v115, v113
	v_pk_mul_f32 v[12:13], v[12:13], v[112:113]
	buffer_store_dwordx4 v[10:13], v111, s[12:15], 0 offen
	s_waitcnt lgkmcnt(0)
	s_barrier
	ds_write2_b32 v191, v106, v107 offset1:32
	ds_write2_b32 v191, v108, v109 offset0:64 offset1:96
	s_waitcnt lgkmcnt(0)
	s_barrier
	buffer_load_dwordx4 v[10:13], v122, s[0:3], 0 offen offset:128
	buffer_load_dwordx4 v[106:109], v123, s[4:7], 0 offen offset:128
	ds_read_b128 v[112:115], v192
	s_waitcnt vmcnt(1) lgkmcnt(0)
	v_pk_add_f32 v[10:11], v[112:113], v[10:11]
	s_waitcnt vmcnt(0)
	v_pk_add_f32 v[10:11], v[10:11], v[106:107]
	v_pk_add_f32 v[12:13], v[114:115], v[12:13]
	v_mul_f32_e32 v94, 0x3d92220c, v10
	v_fma_f32 v94, -v10, v94, s8
	v_mul_f32_e32 v94, v10, v94
	v_mul_f32_e32 v106, 0x3fb8aa3b, v94
	v_fma_f32 v107, v94, s11, -v106
	v_rndne_f32_e32 v112, v106
	v_fmac_f32_e32 v107, 0x32a5705f, v94
	v_sub_f32_e32 v106, v106, v112
	v_add_f32_e32 v106, v106, v107
	v_exp_f32_e32 v106, v106
	v_cvt_i32_f32_e32 v107, v112
	v_cmp_ngt_f32_e32 vcc, s9, v94
	v_pk_add_f32 v[12:13], v[12:13], v[108:109]
	v_ldexp_f32 v95, v106, v107
	v_mul_f32_e32 v106, 0x3d92220c, v11
	v_fma_f32 v106, -v11, v106, s8
	v_mul_f32_e32 v106, v11, v106
	v_mul_f32_e32 v107, 0x3fb8aa3b, v106
	v_fma_f32 v112, v106, s11, -v107
	v_rndne_f32_e32 v113, v107
	v_fmac_f32_e32 v112, 0x32a5705f, v106
	v_sub_f32_e32 v107, v107, v113
	v_add_f32_e32 v107, v107, v112
	v_exp_f32_e32 v107, v107
	v_cvt_i32_f32_e32 v112, v113
	v_cndmask_b32_e32 v95, 0, v95, vcc
	v_cmp_nlt_f32_e32 vcc, s10, v94
	s_nop 1
	v_cndmask_b32_e32 v94, v190, v95, vcc
	v_ldexp_f32 v95, v107, v112
	v_cmp_ngt_f32_e32 vcc, s9, v106
	s_nop 1
	v_cndmask_b32_e32 v95, 0, v95, vcc
	v_cmp_nlt_f32_e32 vcc, s10, v106
	s_nop 1
	v_cndmask_b32_e32 v95, v190, v95, vcc
	v_pk_add_f32 v[94:95], v[94:95], 1.0 op_sel_hi:[1,0]
	s_nop 0
	v_frexp_mant_f32_e32 v106, v94
	v_rcp_f32_e32 v106, v106
	v_frexp_exp_i32_f32_e32 v94, v94
	v_sub_u32_e32 v94, 0, v94
	v_frexp_mant_f32_e32 v96, v95
	v_ldexp_f32 v94, v106, v94
	v_mul_f32_e32 v106, 0x3d92220c, v12
	v_fma_f32 v106, -v12, v106, s8
	v_rcp_f32_e32 v96, v96
	v_mul_f32_e32 v106, v12, v106
	v_mul_f32_e32 v107, 0x3fb8aa3b, v106
	v_frexp_exp_i32_f32_e32 v95, v95
	v_fma_f32 v108, v106, s11, -v107
	v_rndne_f32_e32 v109, v107
	v_fmac_f32_e32 v108, 0x32a5705f, v106
	v_sub_f32_e32 v107, v107, v109
	v_sub_u32_e32 v95, 0, v95
	v_add_f32_e32 v107, v107, v108
	v_ldexp_f32 v95, v96, v95
	v_exp_f32_e32 v107, v107
	v_cvt_i32_f32_e32 v108, v109
	v_pk_mul_f32 v[10:11], v[10:11], v[94:95]
	v_mul_f32_e32 v95, 0x3d92220c, v13
	v_fma_f32 v95, -v13, v95, s8
	v_mul_f32_e32 v95, v13, v95
	v_mul_f32_e32 v96, 0x3fb8aa3b, v95
	v_ldexp_f32 v94, v107, v108
	v_fma_f32 v107, v95, s11, -v96
	v_rndne_f32_e32 v108, v96
	v_fmac_f32_e32 v107, 0x32a5705f, v95
	v_sub_f32_e32 v96, v96, v108
	v_add_f32_e32 v96, v96, v107
	v_exp_f32_e32 v96, v96
	v_cvt_i32_f32_e32 v107, v108
	v_cmp_ngt_f32_e32 vcc, s9, v106
	v_ldexp_f32 v96, v96, v107
	s_nop 0
	v_cndmask_b32_e32 v94, 0, v94, vcc
	v_cmp_nlt_f32_e32 vcc, s10, v106
	s_nop 1
	v_cndmask_b32_e32 v94, v190, v94, vcc
	v_cmp_ngt_f32_e32 vcc, s9, v95
	s_nop 1
	v_cndmask_b32_e32 v96, 0, v96, vcc
	v_cmp_nlt_f32_e32 vcc, s10, v95
	s_nop 1
	v_cndmask_b32_e32 v95, v190, v96, vcc
	v_pk_add_f32 v[94:95], v[94:95], 1.0 op_sel_hi:[1,0]
	s_nop 0
	v_frexp_mant_f32_e32 v96, v94
	v_frexp_mant_f32_e32 v106, v95
	v_rcp_f32_e32 v96, v96
	v_rcp_f32_e32 v106, v106
	v_frexp_exp_i32_f32_e32 v94, v94
	v_frexp_exp_i32_f32_e32 v95, v95
	v_sub_u32_e32 v94, 0, v94
	v_sub_u32_e32 v95, 0, v95
	v_ldexp_f32 v94, v96, v94
	v_ldexp_f32 v95, v106, v95
	v_pk_mul_f32 v[12:13], v[12:13], v[94:95]
	buffer_store_dwordx4 v[10:13], v111, s[12:15], 0 offen offset:128
	s_waitcnt lgkmcnt(0)
	s_barrier
	ds_write2_b32 v191, v102, v103 offset1:32
	ds_write2_b32 v191, v104, v105 offset0:64 offset1:96
	s_waitcnt lgkmcnt(0)
	s_barrier
	buffer_load_dwordx4 v[10:13], v122, s[0:3], 0 offen offset:256
	buffer_load_dwordx4 v[102:105], v123, s[4:7], 0 offen offset:256
	ds_read_b128 v[106:109], v192
	s_waitcnt vmcnt(1) lgkmcnt(0)
	v_pk_add_f32 v[10:11], v[106:107], v[10:11]
	s_waitcnt vmcnt(0)
	v_pk_add_f32 v[10:11], v[10:11], v[102:103]
	v_pk_add_f32 v[12:13], v[108:109], v[12:13]
	v_mul_f32_e32 v94, 0x3d92220c, v10
	v_fma_f32 v94, -v10, v94, s8
	v_mul_f32_e32 v94, v10, v94
	v_mul_f32_e32 v95, 0x3fb8aa3b, v94
	v_fma_f32 v96, v94, s11, -v95
	v_rndne_f32_e32 v97, v95
	v_fmac_f32_e32 v96, 0x32a5705f, v94
	v_sub_f32_e32 v95, v95, v97
	v_add_f32_e32 v95, v95, v96
	v_exp_f32_e32 v95, v95
	v_cvt_i32_f32_e32 v96, v97
	v_cmp_ngt_f32_e32 vcc, s9, v94
	v_pk_add_f32 v[12:13], v[12:13], v[104:105]
	v_add_u32_e32 v104, 0x60, v0
	v_ldexp_f32 v82, v95, v96
	v_mul_f32_e32 v95, 0x3d92220c, v11
	v_fma_f32 v95, -v11, v95, s8
	v_mul_f32_e32 v95, v11, v95
	v_mul_f32_e32 v96, 0x3fb8aa3b, v95
	v_fma_f32 v97, v95, s11, -v96
	v_rndne_f32_e32 v102, v96
	v_fmac_f32_e32 v97, 0x32a5705f, v95
	v_sub_f32_e32 v96, v96, v102
	v_add_f32_e32 v96, v96, v97
	v_exp_f32_e32 v96, v96
	v_cvt_i32_f32_e32 v97, v102
	v_cndmask_b32_e32 v82, 0, v82, vcc
	v_cmp_nlt_f32_e32 vcc, s10, v94
	v_add_u32_e32 v105, 0x60, v1
	s_nop 0
	v_cndmask_b32_e32 v94, v190, v82, vcc
	v_ldexp_f32 v82, v96, v97
	v_cmp_ngt_f32_e32 vcc, s9, v95
	s_nop 1
	v_cndmask_b32_e32 v82, 0, v82, vcc
	v_cmp_nlt_f32_e32 vcc, s10, v95
	s_nop 1
	v_cndmask_b32_e32 v95, v190, v82, vcc
	v_pk_add_f32 v[94:95], v[94:95], 1.0 op_sel_hi:[1,0]
	s_nop 0
	v_frexp_mant_f32_e32 v82, v94
	v_rcp_f32_e32 v82, v82
	v_frexp_exp_i32_f32_e32 v83, v94
	v_sub_u32_e32 v83, 0, v83
	v_frexp_exp_i32_f32_e32 v94, v95
	v_ldexp_f32 v82, v82, v83
	v_frexp_mant_f32_e32 v83, v95
	v_mul_f32_e32 v95, 0x3d92220c, v12
	v_fma_f32 v95, -v12, v95, s8
	v_rcp_f32_e32 v83, v83
	v_mul_f32_e32 v95, v12, v95
	v_mul_f32_e32 v96, 0x3fb8aa3b, v95
	v_fma_f32 v97, v95, s11, -v96
	v_rndne_f32_e32 v102, v96
	v_fmac_f32_e32 v97, 0x32a5705f, v95
	v_sub_f32_e32 v96, v96, v102
	v_sub_u32_e32 v94, 0, v94
	v_add_f32_e32 v96, v96, v97
	v_ldexp_f32 v83, v83, v94
	v_exp_f32_e32 v96, v96
	v_cvt_i32_f32_e32 v97, v102
	v_pk_mul_f32 v[10:11], v[10:11], v[82:83]
	v_mul_f32_e32 v83, 0x3d92220c, v13
	v_fma_f32 v83, -v13, v83, s8
	v_mul_f32_e32 v83, v13, v83
	v_mul_f32_e32 v94, 0x3fb8aa3b, v83
	v_ldexp_f32 v82, v96, v97
	v_fma_f32 v96, v83, s11, -v94
	v_rndne_f32_e32 v97, v94
	v_fmac_f32_e32 v96, 0x32a5705f, v83
	v_sub_f32_e32 v94, v94, v97
	v_add_f32_e32 v94, v94, v96
	v_exp_f32_e32 v94, v94
	v_cvt_i32_f32_e32 v96, v97
	v_cmp_ngt_f32_e32 vcc, s9, v95
	v_ldexp_f32 v94, v94, v96
	s_nop 0
	v_cndmask_b32_e32 v82, 0, v82, vcc
	v_cmp_nlt_f32_e32 vcc, s10, v95
	s_nop 1
	v_cndmask_b32_e32 v82, v190, v82, vcc
	v_cmp_ngt_f32_e32 vcc, s9, v83
	s_nop 1
	v_cndmask_b32_e32 v94, 0, v94, vcc
	v_cmp_nlt_f32_e32 vcc, s10, v83
	s_nop 1
	v_cndmask_b32_e32 v83, v190, v94, vcc
	v_pk_add_f32 v[82:83], v[82:83], 1.0 op_sel_hi:[1,0]
	s_nop 0
	v_frexp_mant_f32_e32 v94, v82
	v_frexp_mant_f32_e32 v95, v83
	v_rcp_f32_e32 v94, v94
	v_rcp_f32_e32 v95, v95
	v_frexp_exp_i32_f32_e32 v82, v82
	v_frexp_exp_i32_f32_e32 v83, v83
	v_sub_u32_e32 v82, 0, v82
	v_sub_u32_e32 v83, 0, v83
	v_ldexp_f32 v82, v94, v82
	v_ldexp_f32 v83, v95, v83
	v_pk_mul_f32 v[12:13], v[12:13], v[82:83]
	buffer_store_dwordx4 v[10:13], v111, s[12:15], 0 offen offset:256
	s_waitcnt lgkmcnt(0)
	s_barrier
	v_lshlrev_b32_e32 v10, 2, v104
	ds_write2_b32 v191, v98, v99 offset1:32
	ds_write2_b32 v191, v100, v101 offset0:64 offset1:96
	s_waitcnt lgkmcnt(0)
	s_barrier
	buffer_load_dwordx2 v[82:83], v10, s[0:3], 0 offen
	v_lshlrev_b32_e32 v10, 2, v105
	buffer_load_dwordx2 v[98:99], v10, s[4:7], 0 offen
	buffer_load_dwordx2 v[100:101], v122, s[0:3], 0 offen offset:392
	buffer_load_dwordx2 v[102:103], v123, s[4:7], 0 offen offset:392
	v_mfma_f32_16x16x4_f32 v[10:13], v84, v36, v[42:45]
	ds_read_b128 v[94:97], v192
	v_mfma_f32_16x16x4_f32 v[42:45], v85, v37, v[10:13]
	s_waitcnt vmcnt(3) lgkmcnt(0)
	s_nop 6
	v_add_f32_e64 v10, v94, v82
	v_add_f32_e64 v11, v95, v83
	v_add_u32_e32 v95, 0x60, v110
	s_waitcnt vmcnt(2)
	v_pk_add_f32 v[82:83], v[10:11], v[98:99]
	s_nop 0
	v_mul_f32_e32 v10, 0x3d92220c, v82
	v_fma_f32 v10, -v82, v10, s8
	v_mul_f32_e32 v84, v82, v10
	v_mul_f32_e32 v10, 0x3fb8aa3b, v84
	v_fma_f32 v11, v84, s11, -v10
	v_rndne_f32_e32 v12, v10
	v_fmac_f32_e32 v11, 0x32a5705f, v84
	v_sub_f32_e32 v10, v10, v12
	v_add_f32_e32 v10, v10, v11
	v_exp_f32_e32 v85, v10
	v_cvt_i32_f32_e32 v94, v12
	v_mfma_f32_16x16x4_f32 v[10:13], v46, v62, v[30:33]
	v_mul_f32_e32 v31, 0x3d92220c, v83
	v_fma_f32 v31, -v83, v31, s8
	v_mul_f32_e32 v31, v83, v31
	v_mul_f32_e32 v32, 0x3fb8aa3b, v31
	v_fma_f32 v33, v31, s11, -v32
	v_rndne_f32_e32 v62, v32
	v_fmac_f32_e32 v33, 0x32a5705f, v31
	v_sub_f32_e32 v32, v32, v62
	v_add_f32_e32 v32, v32, v33
	v_exp_f32_e32 v32, v32
	v_cvt_i32_f32_e32 v33, v62
	v_ldexp_f32 v30, v85, v94
	v_cmp_ngt_f32_e32 vcc, s9, v84
	v_mfma_f32_16x16x4_f32 v[10:13], v47, v63, v[10:13]
	v_ldexp_f32 v32, v32, v33
	v_cndmask_b32_e32 v30, 0, v30, vcc
	v_cmp_nlt_f32_e32 vcc, s10, v84
	s_nop 1
	v_cndmask_b32_e32 v30, v190, v30, vcc
	v_cmp_ngt_f32_e32 vcc, s9, v31
	v_mfma_f32_16x16x4_f32 v[10:13], v48, v64, v[10:13]
	s_nop 0
	v_cndmask_b32_e32 v32, 0, v32, vcc
	v_cmp_nlt_f32_e32 vcc, s10, v31
	s_nop 1
	v_cndmask_b32_e32 v31, v190, v32, vcc
	v_add_f32_e64 v30, v30, 1.0
	v_add_f32_e64 v31, v31, 1.0
	v_mfma_f32_16x16x4_f32 v[10:13], v49, v65, v[10:13]
	v_frexp_mant_f32_e32 v32, v30
	v_frexp_mant_f32_e32 v33, v31
	v_rcp_f32_e32 v32, v32
	v_rcp_f32_e32 v33, v33
	v_frexp_exp_i32_f32_e32 v30, v30
	v_frexp_exp_i32_f32_e32 v31, v31
	v_sub_u32_e32 v30, 0, v30
	v_sub_u32_e32 v31, 0, v31
	v_ldexp_f32 v30, v32, v30
	v_ldexp_f32 v31, v33, v31
	s_waitcnt vmcnt(1)
	v_pk_add_f32 v[32:33], v[96:97], v[100:101]
	v_pk_mul_f32 v[30:31], v[82:83], v[30:31]
	s_waitcnt vmcnt(0)
	v_pk_add_f32 v[32:33], v[32:33], v[102:103]
	v_lshlrev_b32_e32 v82, 2, v95
	v_mul_f32_e32 v62, 0x3d92220c, v32
	v_fma_f32 v62, -v32, v62, s8
	v_mul_f32_e32 v62, v32, v62
	v_mul_f32_e32 v84, 0x3fb8aa3b, v62
	v_fma_f32 v85, v62, s11, -v84
	v_rndne_f32_e32 v94, v84
	v_fmac_f32_e32 v85, 0x32a5705f, v62
	v_sub_f32_e32 v84, v84, v94
	v_add_f32_e32 v84, v84, v85
	v_exp_f32_e32 v84, v84
	v_cvt_i32_f32_e32 v85, v94
	buffer_store_dwordx2 v[30:31], v82, s[12:15], 0 offen
	v_mul_f32_e32 v31, 0x3d92220c, v33
	v_fma_f32 v31, -v33, v31, s8
	v_mul_f32_e32 v31, v33, v31
	v_mul_f32_e32 v82, 0x3fb8aa3b, v31
	v_ldexp_f32 v30, v84, v85
	v_fma_f32 v83, v31, s11, -v82
	v_rndne_f32_e32 v84, v82
	v_fmac_f32_e32 v83, 0x32a5705f, v31
	v_sub_f32_e32 v82, v82, v84
	v_add_f32_e32 v82, v82, v83
	v_exp_f32_e32 v82, v82
	v_cvt_i32_f32_e32 v83, v84
	v_cmp_ngt_f32_e32 vcc, s9, v62
	v_add_lshl_u32 v94, v104, s18, 2
	v_add_lshl_u32 v96, v105, s17, 2
	v_cndmask_b32_e32 v30, 0, v30, vcc
	v_cmp_nlt_f32_e32 vcc, s10, v62
	v_ldexp_f32 v62, v82, v83
	s_nop 0
	v_cndmask_b32_e32 v30, v190, v30, vcc
	v_cmp_ngt_f32_e32 vcc, s9, v31
	s_nop 1
	v_cndmask_b32_e32 v62, 0, v62, vcc
	v_cmp_nlt_f32_e32 vcc, s10, v31
	s_nop 1
	v_cndmask_b32_e32 v31, v190, v62, vcc
	v_pk_add_f32 v[30:31], v[30:31], 1.0 op_sel_hi:[1,0]
	s_nop 0
	v_frexp_mant_f32_e32 v62, v30
	v_frexp_mant_f32_e32 v82, v31
	v_rcp_f32_e32 v62, v62
	v_rcp_f32_e32 v82, v82
	v_frexp_exp_i32_f32_e32 v30, v30
	v_frexp_exp_i32_f32_e32 v31, v31
	v_sub_u32_e32 v30, 0, v30
	v_sub_u32_e32 v31, 0, v31
	v_ldexp_f32 v30, v62, v30
	v_ldexp_f32 v31, v82, v31
	v_pk_mul_f32 v[30:31], v[32:33], v[30:31]
	buffer_store_dwordx2 v[30:31], v111, s[12:15], 0 offen offset:392
	s_waitcnt lgkmcnt(0)
	s_barrier
	ds_write2_b32 v191, v74, v75 offset1:32
	ds_write2_b32 v191, v76, v77 offset0:64 offset1:96
	s_waitcnt lgkmcnt(0)
	s_barrier
	buffer_load_dwordx4 v[30:33], v94, s[0:3], 0 offen
	buffer_load_dwordx4 v[74:77], v96, s[4:7], 0 offen
	ds_read_b128 v[82:85], v192
	s_waitcnt vmcnt(1) lgkmcnt(0)
	v_pk_add_f32 v[30:31], v[82:83], v[30:31]
	s_waitcnt vmcnt(0)
	v_pk_add_f32 v[30:31], v[30:31], v[74:75]
	v_pk_add_f32 v[32:33], v[84:85], v[32:33]
	v_mul_f32_e32 v62, 0x3d92220c, v30
	v_fma_f32 v62, -v30, v62, s8
	v_mul_f32_e32 v62, v30, v62
	v_mul_f32_e32 v63, 0x3fb8aa3b, v62
	v_fma_f32 v74, v62, s11, -v63
	v_rndne_f32_e32 v75, v63
	v_fmac_f32_e32 v74, 0x32a5705f, v62
	v_sub_f32_e32 v63, v63, v75
	v_add_f32_e32 v63, v63, v74
	v_exp_f32_e32 v63, v63
	v_cvt_i32_f32_e32 v74, v75
	v_mul_f32_e32 v64, 0x3d92220c, v31
	v_fma_f32 v64, -v31, v64, s8
	v_mul_f32_e32 v64, v31, v64
	v_ldexp_f32 v63, v63, v74
	v_mul_f32_e32 v74, 0x3fb8aa3b, v64
	v_fma_f32 v75, v64, s11, -v74
	v_rndne_f32_e32 v82, v74
	v_fmac_f32_e32 v75, 0x32a5705f, v64
	v_sub_f32_e32 v74, v74, v82
	v_add_f32_e32 v74, v74, v75
	v_exp_f32_e32 v74, v74
	v_cvt_i32_f32_e32 v75, v82
	v_cmp_ngt_f32_e32 vcc, s9, v62
	v_pk_add_f32 v[32:33], v[32:33], v[76:77]
	v_add_lshl_u32 v82, v95, s16, 2
	v_cndmask_b32_e32 v63, 0, v63, vcc
	v_cmp_nlt_f32_e32 vcc, s10, v62
	v_mul_f32_e32 v65, 0x3d92220c, v32
	v_fma_f32 v65, -v32, v65, s8
	v_cndmask_b32_e32 v62, v190, v63, vcc
	v_ldexp_f32 v63, v74, v75
	v_cmp_ngt_f32_e32 vcc, s9, v64
	v_mul_f32_e32 v65, v32, v65
	v_mul_f32_e32 v74, 0x3fb8aa3b, v65
	v_cndmask_b32_e32 v63, 0, v63, vcc
	v_cmp_nlt_f32_e32 vcc, s10, v64
	v_fma_f32 v75, v65, s11, -v74
	v_rndne_f32_e32 v76, v74
	v_cndmask_b32_e32 v63, v190, v63, vcc
	v_pk_add_f32 v[62:63], v[62:63], 1.0 op_sel_hi:[1,0]
	v_fmac_f32_e32 v75, 0x32a5705f, v65
	v_frexp_mant_f32_e32 v64, v62
	v_rcp_f32_e32 v64, v64
	v_frexp_exp_i32_f32_e32 v62, v62
	v_sub_u32_e32 v62, 0, v62
	v_sub_f32_e32 v74, v74, v76
	v_ldexp_f32 v62, v64, v62
	v_frexp_mant_f32_e32 v64, v63
	v_rcp_f32_e32 v64, v64
	v_frexp_exp_i32_f32_e32 v63, v63
	v_sub_u32_e32 v63, 0, v63
	v_add_f32_e32 v74, v74, v75
	v_ldexp_f32 v63, v64, v63
	v_exp_f32_e32 v74, v74
	v_cvt_i32_f32_e32 v75, v76
	v_pk_mul_f32 v[30:31], v[30:31], v[62:63]
	v_mul_f32_e32 v63, 0x3d92220c, v33
	v_fma_f32 v63, -v33, v63, s8
	v_mul_f32_e32 v63, v33, v63
	v_mul_f32_e32 v64, 0x3fb8aa3b, v63
	v_ldexp_f32 v62, v74, v75
	v_fma_f32 v74, v63, s11, -v64
	v_rndne_f32_e32 v75, v64
	v_fmac_f32_e32 v74, 0x32a5705f, v63
	v_sub_f32_e32 v64, v64, v75
	v_add_f32_e32 v64, v64, v74
	v_exp_f32_e32 v64, v64
	v_cvt_i32_f32_e32 v74, v75
	v_cmp_ngt_f32_e32 vcc, s9, v65
	v_ldexp_f32 v64, v64, v74
	s_nop 0
	v_cndmask_b32_e32 v62, 0, v62, vcc
	v_cmp_nlt_f32_e32 vcc, s10, v65
	s_nop 1
	v_cndmask_b32_e32 v62, v190, v62, vcc
	v_cmp_ngt_f32_e32 vcc, s9, v63
	s_nop 1
	v_cndmask_b32_e32 v64, 0, v64, vcc
	v_cmp_nlt_f32_e32 vcc, s10, v63
	s_nop 1
	v_cndmask_b32_e32 v63, v190, v64, vcc
	v_pk_add_f32 v[62:63], v[62:63], 1.0 op_sel_hi:[1,0]
	s_nop 0
	v_frexp_mant_f32_e32 v64, v62
	v_frexp_mant_f32_e32 v65, v63
	v_rcp_f32_e32 v64, v64
	v_rcp_f32_e32 v65, v65
	v_frexp_exp_i32_f32_e32 v62, v62
	v_frexp_exp_i32_f32_e32 v63, v63
	v_sub_u32_e32 v62, 0, v62
	v_sub_u32_e32 v63, 0, v63
	v_ldexp_f32 v62, v64, v62
	v_ldexp_f32 v63, v65, v63
	v_pk_mul_f32 v[32:33], v[32:33], v[62:63]
	buffer_store_dwordx4 v[30:33], v82, s[12:15], 0 offen
	s_waitcnt lgkmcnt(0)
	s_barrier
	v_add_u32_e32 v30, 0xffffff80, v94
	ds_write2_b32 v191, v78, v79 offset1:32
	ds_write2_b32 v191, v80, v81 offset0:64 offset1:96
	s_waitcnt lgkmcnt(0)
	s_barrier
	buffer_load_dwordx2 v[62:63], v30, s[0:3], 0 offen
	v_add_u32_e32 v30, 0xffffff80, v96
	buffer_load_dwordx2 v[64:65], v30, s[4:7], 0 offen
	v_mfma_f32_16x16x4_f32 v[30:33], v22, v6, v[10:13]
	v_add_u32_e32 v6, 0xffffff88, v94
	buffer_load_dwordx2 v[74:75], v6, s[0:3], 0 offen
	v_add_u32_e32 v6, 0xffffff88, v96
	buffer_load_dwordx2 v[76:77], v6, s[4:7], 0 offen
	ds_read_b128 v[10:13], v192
	s_waitcnt vmcnt(3) lgkmcnt(0)
	v_pk_add_f32 v[10:11], v[10:11], v[62:63]
	s_waitcnt vmcnt(2)
	v_pk_add_f32 v[10:11], v[10:11], v[64:65]
	s_nop 0
	v_mul_f32_e32 v6, 0x3d92220c, v10
	v_fma_f32 v6, -v10, v6, s8
	v_mul_f32_e32 v6, v10, v6
	v_mul_f32_e32 v54, 0x3fb8aa3b, v6
	v_fma_f32 v62, v6, s11, -v54
	v_rndne_f32_e32 v63, v54
	v_fmac_f32_e32 v62, 0x32a5705f, v6
	v_sub_f32_e32 v54, v54, v63
	v_add_f32_e32 v54, v54, v62
	v_exp_f32_e32 v54, v54
	v_cvt_i32_f32_e32 v62, v63
	v_mul_f32_e32 v55, 0x3d92220c, v11
	v_fma_f32 v55, -v11, v55, s8
	v_mul_f32_e32 v55, v11, v55
	v_ldexp_f32 v54, v54, v62
	v_mul_f32_e32 v62, 0x3fb8aa3b, v55
	v_fma_f32 v63, v55, s11, -v62
	v_rndne_f32_e32 v64, v62
	v_fmac_f32_e32 v63, 0x32a5705f, v55
	v_sub_f32_e32 v62, v62, v64
	v_add_f32_e32 v62, v62, v63
	v_exp_f32_e32 v62, v62
	v_cvt_i32_f32_e32 v63, v64
	v_cmp_ngt_f32_e32 vcc, s9, v6
	s_waitcnt vmcnt(1)
	v_pk_add_f32 v[12:13], v[12:13], v[74:75]
	v_cndmask_b32_e32 v54, 0, v54, vcc
	v_cmp_nlt_f32_e32 vcc, s10, v6
	v_ldexp_f32 v6, v62, v63
	s_waitcnt vmcnt(0)
	v_pk_add_f32 v[12:13], v[12:13], v[76:77]
	v_cndmask_b32_e32 v54, v190, v54, vcc
	v_cmp_ngt_f32_e32 vcc, s9, v55
	s_nop 1
	v_cndmask_b32_e32 v6, 0, v6, vcc
	v_cmp_nlt_f32_e32 vcc, s10, v55
	s_nop 1
	v_cndmask_b32_e32 v55, v190, v6, vcc
	v_pk_add_f32 v[54:55], v[54:55], 1.0 op_sel_hi:[1,0]
	s_nop 0
	v_frexp_mant_f32_e32 v6, v54
	v_rcp_f32_e32 v6, v6
	v_frexp_mant_f32_e32 v62, v55
	v_frexp_exp_i32_f32_e32 v54, v54
	v_rcp_f32_e32 v62, v62
	v_sub_u32_e32 v54, 0, v54
	v_ldexp_f32 v54, v6, v54
	v_frexp_exp_i32_f32_e32 v6, v55
	v_sub_u32_e32 v6, 0, v6
	v_ldexp_f32 v55, v62, v6
	v_mul_f32_e32 v6, 0x3d92220c, v12
	v_fma_f32 v6, -v12, v6, s8
	v_mul_f32_e32 v6, v12, v6
	v_mul_f32_e32 v62, 0x3fb8aa3b, v6
	v_fma_f32 v63, v6, s11, -v62
	v_rndne_f32_e32 v64, v62
	v_fmac_f32_e32 v63, 0x32a5705f, v6
	v_sub_f32_e32 v62, v62, v64
	v_add_f32_e32 v62, v62, v63
	v_pk_mul_f32 v[10:11], v[10:11], v[54:55]
	v_add_u32_e32 v54, 0xffffff80, v82
	v_exp_f32_e32 v62, v62
	v_cvt_i32_f32_e32 v63, v64
	buffer_store_dwordx2 v[10:11], v54, s[12:15], 0 offen
	v_mul_f32_e32 v11, 0x3d92220c, v13
	v_fma_f32 v11, -v13, v11, s8
	v_mul_f32_e32 v11, v13, v11
	v_mul_f32_e32 v54, 0x3fb8aa3b, v11
	v_ldexp_f32 v10, v62, v63
	v_fma_f32 v55, v11, s11, -v54
	v_rndne_f32_e32 v62, v54
	v_fmac_f32_e32 v55, 0x32a5705f, v11
	v_sub_f32_e32 v54, v54, v62
	v_add_f32_e32 v54, v54, v55
	v_exp_f32_e32 v54, v54
	v_cvt_i32_f32_e32 v55, v62
	v_cmp_ngt_f32_e32 vcc, s9, v6
	s_nop 1
	v_cndmask_b32_e32 v10, 0, v10, vcc
	v_cmp_nlt_f32_e32 vcc, s10, v6
	v_ldexp_f32 v6, v54, v55
	s_nop 0
	v_cndmask_b32_e32 v10, v190, v10, vcc
	v_cmp_ngt_f32_e32 vcc, s9, v11
	s_nop 1
	v_cndmask_b32_e32 v6, 0, v6, vcc
	v_cmp_nlt_f32_e32 vcc, s10, v11
	s_nop 1
	v_cndmask_b32_e32 v11, v190, v6, vcc
	v_pk_add_f32 v[10:11], v[10:11], 1.0 op_sel_hi:[1,0]
	s_nop 0
	v_frexp_mant_f32_e32 v6, v10
	v_rcp_f32_e32 v6, v6
	v_frexp_mant_f32_e32 v54, v11
	v_frexp_exp_i32_f32_e32 v10, v10
	v_rcp_f32_e32 v54, v54
	v_sub_u32_e32 v10, 0, v10
	v_ldexp_f32 v10, v6, v10
	v_frexp_exp_i32_f32_e32 v6, v11
	v_sub_u32_e32 v6, 0, v6
	v_ldexp_f32 v11, v54, v6
	v_pk_mul_f32 v[10:11], v[12:13], v[10:11]
	v_add_u32_e32 v6, 0xffffff88, v82
	buffer_store_dwordx2 v[10:11], v6, s[12:15], 0 offen
	v_add_u32_e32 v6, 0xffffff00, v94
	s_waitcnt lgkmcnt(0)
	s_barrier
	ds_write2_b32 v191, v86, v87 offset1:32
	ds_write2_b32 v191, v88, v89 offset0:64 offset1:96
	s_waitcnt lgkmcnt(0)
	s_barrier
	buffer_load_dwordx2 v[54:55], v6, s[0:3], 0 offen
	v_add_u32_e32 v6, 0xffffff00, v96
	buffer_load_dwordx2 v[74:75], v6, s[4:7], 0 offen
	v_add_u32_e32 v6, 0xffffff08, v94
	;; [unrolled: 2-line block ×3, first 2 shown]
	buffer_load_dwordx2 v[78:79], v6, s[4:7], 0 offen
	v_mfma_f32_16x16x4_f32 v[10:13], v48, v56, v[14:17]
	ds_read_b128 v[62:65], v192
	s_waitcnt vmcnt(3) lgkmcnt(0)
	v_add_f32_e64 v14, v62, v54
	v_add_f32_e64 v15, v63, v55
	v_mfma_f32_16x16x4_f32 v[10:13], v49, v57, v[10:13]
	s_waitcnt vmcnt(2)
	v_add_f32_e64 v54, v14, v74
	v_add_f32_e64 v55, v15, v75
	v_mul_f32_e32 v6, 0x3d92220c, v54
	v_fma_f32 v6, -v54, v6, s8
	v_mul_f32_e32 v6, v54, v6
	v_mul_f32_e32 v14, 0x3fb8aa3b, v6
	v_fma_f32 v15, v6, s11, -v14
	v_rndne_f32_e32 v16, v14
	v_fmac_f32_e32 v15, 0x32a5705f, v6
	v_sub_f32_e32 v14, v14, v16
	v_add_f32_e32 v14, v14, v15
	v_exp_f32_e32 v56, v14
	v_cvt_i32_f32_e32 v57, v16
	v_mfma_f32_16x16x4_f32 v[14:17], v22, v18, v[10:13]
	v_mul_f32_e32 v11, 0x3d92220c, v55
	v_fma_f32 v11, -v55, v11, s8
	v_mul_f32_e32 v11, v55, v11
	v_mul_f32_e32 v12, 0x3fb8aa3b, v11
	v_fma_f32 v13, v11, s11, -v12
	v_rndne_f32_e32 v18, v12
	v_fmac_f32_e32 v13, 0x32a5705f, v11
	v_sub_f32_e32 v12, v12, v18
	v_add_f32_e32 v12, v12, v13
	v_exp_f32_e32 v12, v12
	v_cvt_i32_f32_e32 v13, v18
	v_ldexp_f32 v10, v56, v57
	v_cmp_ngt_f32_e32 vcc, s9, v6
	s_nop 1
	v_cndmask_b32_e32 v10, 0, v10, vcc
	v_cmp_nlt_f32_e32 vcc, s10, v6
	v_ldexp_f32 v6, v12, v13
	s_nop 0
	v_cndmask_b32_e32 v10, v190, v10, vcc
	v_cmp_ngt_f32_e32 vcc, s9, v11
	s_nop 1
	v_cndmask_b32_e32 v6, 0, v6, vcc
	v_cmp_nlt_f32_e32 vcc, s10, v11
	s_nop 1
	v_cndmask_b32_e32 v11, v190, v6, vcc
	v_pk_add_f32 v[10:11], v[10:11], 1.0 op_sel_hi:[1,0]
	s_nop 0
	v_frexp_mant_f32_e32 v6, v10
	v_rcp_f32_e32 v6, v6
	v_frexp_mant_f32_e32 v12, v11
	v_frexp_exp_i32_f32_e32 v10, v10
	v_rcp_f32_e32 v12, v12
	v_sub_u32_e32 v10, 0, v10
	v_ldexp_f32 v10, v6, v10
	v_frexp_exp_i32_f32_e32 v6, v11
	v_sub_u32_e32 v6, 0, v6
	v_ldexp_f32 v11, v12, v6
	s_waitcnt vmcnt(1)
	v_pk_add_f32 v[12:13], v[64:65], v[76:77]
	v_pk_mul_f32 v[10:11], v[54:55], v[10:11]
	s_waitcnt vmcnt(0)
	v_pk_add_f32 v[12:13], v[12:13], v[78:79]
	v_add_u32_e32 v54, 0xffffff00, v82
	v_mul_f32_e32 v6, 0x3d92220c, v12
	v_fma_f32 v6, -v12, v6, s8
	v_mul_f32_e32 v6, v12, v6
	v_mul_f32_e32 v18, 0x3fb8aa3b, v6
	v_fma_f32 v56, v6, s11, -v18
	v_rndne_f32_e32 v57, v18
	v_fmac_f32_e32 v56, 0x32a5705f, v6
	v_sub_f32_e32 v18, v18, v57
	v_add_f32_e32 v18, v18, v56
	v_exp_f32_e32 v18, v18
	v_cvt_i32_f32_e32 v56, v57
	buffer_store_dwordx2 v[10:11], v54, s[12:15], 0 offen
	v_mul_f32_e32 v11, 0x3d92220c, v13
	v_fma_f32 v11, -v13, v11, s8
	v_mul_f32_e32 v11, v13, v11
	v_ldexp_f32 v10, v18, v56
	v_mul_f32_e32 v18, 0x3fb8aa3b, v11
	v_fma_f32 v54, v11, s11, -v18
	v_rndne_f32_e32 v55, v18
	v_fmac_f32_e32 v54, 0x32a5705f, v11
	v_sub_f32_e32 v18, v18, v55
	v_add_f32_e32 v18, v18, v54
	v_exp_f32_e32 v18, v18
	v_cvt_i32_f32_e32 v54, v55
	v_cmp_ngt_f32_e32 vcc, s9, v6
	v_mfma_f32_16x16x4_f32 v[74:77], v46, v50, v[244:247]
	v_add_u32_e32 v78, s16, v110
	v_cndmask_b32_e32 v10, 0, v10, vcc
	v_cmp_nlt_f32_e32 vcc, s10, v6
	v_ldexp_f32 v6, v18, v54
	s_nop 0
	v_cndmask_b32_e32 v10, v190, v10, vcc
	v_cmp_ngt_f32_e32 vcc, s9, v11
	v_mfma_f32_16x16x4_f32 v[74:77], v47, v51, v[74:77]
	s_nop 0
	v_cndmask_b32_e32 v6, 0, v6, vcc
	v_cmp_nlt_f32_e32 vcc, s10, v11
	s_nop 1
	v_cndmask_b32_e32 v11, v190, v6, vcc
	v_add_f32_e64 v10, v10, 1.0
	v_add_f32_e64 v11, v11, 1.0
	v_frexp_mant_f32_e32 v6, v10
	v_rcp_f32_e32 v6, v6
	v_frexp_mant_f32_e32 v18, v11
	v_frexp_exp_i32_f32_e32 v10, v10
	v_rcp_f32_e32 v18, v18
	v_sub_u32_e32 v10, 0, v10
	v_ldexp_f32 v10, v6, v10
	v_frexp_exp_i32_f32_e32 v6, v11
	v_sub_u32_e32 v6, 0, v6
	v_ldexp_f32 v11, v18, v6
	v_pk_mul_f32 v[10:11], v[12:13], v[10:11]
	v_add_u32_e32 v6, 0xffffff08, v82
	buffer_store_dwordx2 v[10:11], v6, s[12:15], 0 offen
	v_add_u32_e32 v6, s18, v0
	v_add_u32_e32 v18, s17, v1
	v_lshlrev_b32_e32 v0, 2, v6
	s_waitcnt lgkmcnt(0)
	s_barrier
	ds_write2_b32 v191, v90, v91 offset1:32
	ds_write2_b32 v191, v92, v93 offset0:64 offset1:96
	s_waitcnt lgkmcnt(0)
	s_barrier
	buffer_load_dwordx4 v[10:13], v0, s[0:3], 0 offen
	v_lshlrev_b32_e32 v0, 2, v18
	buffer_load_dwordx4 v[54:57], v0, s[4:7], 0 offen
	ds_read_b128 v[62:65], v192
	v_add_u32_e32 v6, s18, v6
	v_lshlrev_b32_e32 v79, 2, v6
	s_waitcnt vmcnt(1) lgkmcnt(0)
	v_pk_add_f32 v[0:1], v[62:63], v[10:11]
	v_pk_add_f32 v[12:13], v[64:65], v[12:13]
	s_waitcnt vmcnt(0)
	v_pk_add_f32 v[0:1], v[0:1], v[54:55]
	v_pk_add_f32 v[12:13], v[12:13], v[56:57]
	v_mul_f32_e32 v10, 0x3d92220c, v0
	v_fma_f32 v10, -v0, v10, s8
	v_mul_f32_e32 v10, v0, v10
	v_mul_f32_e32 v11, 0x3fb8aa3b, v10
	v_fma_f32 v50, v10, s11, -v11
	v_rndne_f32_e32 v54, v11
	v_fmac_f32_e32 v50, 0x32a5705f, v10
	v_sub_f32_e32 v11, v11, v54
	v_add_f32_e32 v11, v11, v50
	v_exp_f32_e32 v11, v11
	v_cvt_i32_f32_e32 v50, v54
	v_cmp_ngt_f32_e32 vcc, s9, v10
	v_ldexp_f32 v11, v11, v50
	v_mul_f32_e32 v50, 0x3d92220c, v1
	v_fma_f32 v50, -v1, v50, s8
	v_mul_f32_e32 v50, v1, v50
	v_mul_f32_e32 v51, 0x3fb8aa3b, v50
	v_fma_f32 v54, v50, s11, -v51
	v_rndne_f32_e32 v55, v51
	v_fmac_f32_e32 v54, 0x32a5705f, v50
	v_sub_f32_e32 v51, v51, v55
	v_add_f32_e32 v51, v51, v54
	v_exp_f32_e32 v51, v51
	v_cvt_i32_f32_e32 v54, v55
	v_cndmask_b32_e32 v11, 0, v11, vcc
	v_cmp_nlt_f32_e32 vcc, s10, v10
	s_nop 1
	v_cndmask_b32_e32 v10, v190, v11, vcc
	v_ldexp_f32 v11, v51, v54
	v_cmp_ngt_f32_e32 vcc, s9, v50
	v_mul_f32_e32 v51, 0x3d92220c, v12
	v_fma_f32 v51, -v12, v51, s8
	v_cndmask_b32_e32 v11, 0, v11, vcc
	v_cmp_nlt_f32_e32 vcc, s10, v50
	v_mul_f32_e32 v51, v12, v51
	v_mul_f32_e32 v54, 0x3fb8aa3b, v51
	v_cndmask_b32_e32 v11, v190, v11, vcc
	v_pk_add_f32 v[10:11], v[10:11], 1.0 op_sel_hi:[1,0]
	v_fma_f32 v55, v51, s11, -v54
	v_frexp_mant_f32_e32 v50, v10
	v_rcp_f32_e32 v50, v50
	v_frexp_exp_i32_f32_e32 v10, v10
	v_sub_u32_e32 v10, 0, v10
	v_rndne_f32_e32 v56, v54
	v_ldexp_f32 v10, v50, v10
	v_frexp_mant_f32_e32 v50, v11
	v_rcp_f32_e32 v50, v50
	v_frexp_exp_i32_f32_e32 v11, v11
	v_fmac_f32_e32 v55, 0x32a5705f, v51
	v_sub_f32_e32 v54, v54, v56
	v_sub_u32_e32 v11, 0, v11
	v_add_f32_e32 v54, v54, v55
	v_exp_f32_e32 v54, v54
	v_cvt_i32_f32_e32 v55, v56
	v_ldexp_f32 v11, v50, v11
	v_pk_mul_f32 v[10:11], v[0:1], v[10:11]
	v_mul_f32_e32 v1, 0x3d92220c, v13
	v_fma_f32 v1, -v13, v1, s8
	v_mul_f32_e32 v1, v13, v1
	v_ldexp_f32 v0, v54, v55
	v_mul_f32_e32 v54, 0x3fb8aa3b, v1
	v_fma_f32 v55, v1, s11, -v54
	v_rndne_f32_e32 v56, v54
	v_fmac_f32_e32 v55, 0x32a5705f, v1
	v_sub_f32_e32 v54, v54, v56
	v_add_f32_e32 v54, v54, v55
	v_exp_f32_e32 v54, v54
	v_cvt_i32_f32_e32 v55, v56
	v_cmp_ngt_f32_e32 vcc, s9, v51
	v_lshlrev_b32_e32 v50, 2, v78
	s_nop 0
	v_cndmask_b32_e32 v0, 0, v0, vcc
	v_cmp_nlt_f32_e32 vcc, s10, v51
	v_ldexp_f32 v51, v54, v55
	s_nop 0
	v_cndmask_b32_e32 v0, v190, v0, vcc
	v_cmp_ngt_f32_e32 vcc, s9, v1
	s_nop 1
	v_cndmask_b32_e32 v51, 0, v51, vcc
	v_cmp_nlt_f32_e32 vcc, s10, v1
	s_nop 1
	v_cndmask_b32_e32 v1, v190, v51, vcc
	v_pk_add_f32 v[0:1], v[0:1], 1.0 op_sel_hi:[1,0]
	s_nop 0
	v_frexp_mant_f32_e32 v51, v0
	v_frexp_mant_f32_e32 v54, v1
	v_rcp_f32_e32 v51, v51
	v_rcp_f32_e32 v54, v54
	v_frexp_exp_i32_f32_e32 v0, v0
	v_frexp_exp_i32_f32_e32 v1, v1
	v_sub_u32_e32 v0, 0, v0
	v_sub_u32_e32 v1, 0, v1
	v_ldexp_f32 v0, v51, v0
	v_ldexp_f32 v1, v54, v1
	v_pk_mul_f32 v[12:13], v[12:13], v[0:1]
	v_add_u32_e32 v1, s17, v18
	buffer_store_dwordx4 v[10:13], v50, s[12:15], 0 offen
	s_waitcnt lgkmcnt(0)
	s_barrier
	ds_write2_b32 v191, v70, v71 offset1:32
	ds_write2_b32 v191, v72, v73 offset0:64 offset1:96
	s_waitcnt lgkmcnt(0)
	s_barrier
	buffer_load_dwordx4 v[10:13], v79, s[0:3], 0 offen
	v_lshlrev_b32_e32 v80, 2, v1
	buffer_load_dwordx4 v[54:57], v80, s[4:7], 0 offen
	ds_read_b128 v[62:65], v192
	v_mfma_f32_16x16x4_f32 v[70:73], v48, v52, v[74:77]
	s_waitcnt vmcnt(1) lgkmcnt(0)
	v_add_f32_e64 v10, v62, v10
	v_add_f32_e64 v11, v63, v11
	v_add_f32_e64 v12, v64, v12
	v_add_f32_e64 v13, v65, v13
	s_waitcnt vmcnt(0)
	v_pk_add_f32 v[10:11], v[10:11], v[54:55]
	v_pk_add_f32 v[12:13], v[12:13], v[56:57]
	v_mul_f32_e32 v0, 0x3d92220c, v10
	v_fma_f32 v0, -v10, v0, s8
	v_mul_f32_e32 v0, v10, v0
	v_mul_f32_e32 v18, 0x3fb8aa3b, v0
	v_fma_f32 v50, v0, s11, -v18
	v_rndne_f32_e32 v51, v18
	v_fmac_f32_e32 v50, 0x32a5705f, v0
	v_sub_f32_e32 v18, v18, v51
	v_add_f32_e32 v18, v18, v50
	v_exp_f32_e32 v18, v18
	v_cvt_i32_f32_e32 v54, v51
	v_cmp_ngt_f32_e32 vcc, s9, v0
	v_mul_f32_e32 v56, 0x3d92220c, v12
	v_fma_f32 v56, -v12, v56, s8
	v_ldexp_f32 v18, v18, v54
	v_mul_f32_e32 v54, 0x3d92220c, v11
	v_fma_f32 v54, -v11, v54, s8
	v_mul_f32_e32 v55, v11, v54
	v_mul_f32_e32 v54, 0x3fb8aa3b, v55
	v_fma_f32 v62, v55, s11, -v54
	v_rndne_f32_e32 v63, v54
	v_fmac_f32_e32 v62, 0x32a5705f, v55
	v_sub_f32_e32 v54, v54, v63
	v_add_f32_e32 v54, v54, v62
	v_exp_f32_e32 v62, v54
	v_cvt_i32_f32_e32 v63, v63
	v_cndmask_b32_e32 v18, 0, v18, vcc
	v_cmp_nlt_f32_e32 vcc, s10, v0
	v_mul_f32_e32 v56, v12, v56
	v_ldexp_f32 v0, v62, v63
	v_cndmask_b32_e32 v54, v190, v18, vcc
	v_cmp_ngt_f32_e32 vcc, s9, v55
	v_mul_f32_e32 v57, 0x3fb8aa3b, v56
	v_fma_f32 v62, v56, s11, -v57
	v_cndmask_b32_e32 v0, 0, v0, vcc
	v_cmp_nlt_f32_e32 vcc, s10, v55
	v_rndne_f32_e32 v63, v57
	v_fmac_f32_e32 v62, 0x32a5705f, v56
	v_cndmask_b32_e32 v55, v190, v0, vcc
	v_pk_add_f32 v[54:55], v[54:55], 1.0 op_sel_hi:[1,0]
	v_sub_f32_e32 v57, v57, v63
	v_frexp_mant_f32_e32 v0, v54
	v_rcp_f32_e32 v18, v0
	v_frexp_exp_i32_f32_e32 v54, v54
	v_sub_u32_e32 v54, 0, v54
	v_add_f32_e32 v57, v57, v62
	v_ldexp_f32 v54, v18, v54
	v_frexp_mant_f32_e32 v18, v55
	v_rcp_f32_e32 v18, v18
	v_frexp_exp_i32_f32_e32 v55, v55
	v_sub_u32_e32 v55, 0, v55
	v_exp_f32_e32 v57, v57
	v_cvt_i32_f32_e32 v62, v63
	v_ldexp_f32 v55, v18, v55
	v_pk_mul_f32 v[10:11], v[10:11], v[54:55]
	v_mul_f32_e32 v55, 0x3d92220c, v13
	v_fma_f32 v55, -v13, v55, s8
	v_mul_f32_e32 v55, v13, v55
	v_ldexp_f32 v54, v57, v62
	v_mul_f32_e32 v57, 0x3fb8aa3b, v55
	v_fma_f32 v62, v55, s11, -v57
	v_rndne_f32_e32 v63, v57
	v_fmac_f32_e32 v62, 0x32a5705f, v55
	v_sub_f32_e32 v57, v57, v63
	v_add_f32_e32 v57, v57, v62
	v_exp_f32_e32 v57, v57
	v_cvt_i32_f32_e32 v62, v63
	v_cmp_ngt_f32_e32 vcc, s9, v56
	v_add_u32_e32 v0, s16, v78
	v_lshlrev_b32_e32 v18, 2, v0
	v_cndmask_b32_e32 v54, 0, v54, vcc
	v_cmp_nlt_f32_e32 vcc, s10, v56
	v_ldexp_f32 v56, v57, v62
	v_mfma_f32_16x16x4_f32 v[50:53], v49, v53, v[70:73]
	v_cndmask_b32_e32 v54, v190, v54, vcc
	v_cmp_ngt_f32_e32 vcc, s9, v55
	s_nop 1
	v_cndmask_b32_e32 v56, 0, v56, vcc
	v_cmp_nlt_f32_e32 vcc, s10, v55
	s_nop 1
	v_cndmask_b32_e32 v55, v190, v56, vcc
	v_pk_add_f32 v[54:55], v[54:55], 1.0 op_sel_hi:[1,0]
	s_nop 0
	v_frexp_mant_f32_e32 v56, v54
	v_frexp_mant_f32_e32 v57, v55
	v_rcp_f32_e32 v56, v56
	v_rcp_f32_e32 v57, v57
	v_frexp_exp_i32_f32_e32 v54, v54
	v_frexp_exp_i32_f32_e32 v55, v55
	v_sub_u32_e32 v54, 0, v54
	v_sub_u32_e32 v55, 0, v55
	v_ldexp_f32 v54, v56, v54
	v_ldexp_f32 v55, v57, v55
	v_pk_mul_f32 v[12:13], v[12:13], v[54:55]
	buffer_store_dwordx4 v[10:13], v18, s[12:15], 0 offen
	s_waitcnt lgkmcnt(0)
	s_barrier
	ds_write2_b32 v191, v66, v67 offset1:32
	ds_write2_b32 v191, v68, v69 offset0:64 offset1:96
	s_waitcnt lgkmcnt(0)
	s_barrier
	buffer_load_dwordx4 v[54:57], v79, s[0:3], 0 offen offset:128
	buffer_load_dwordx4 v[62:65], v80, s[4:7], 0 offen offset:128
	ds_read_b128 v[66:69], v192
	v_mfma_f32_16x16x4_f32 v[10:13], v22, v26, v[50:53]
	s_waitcnt vmcnt(1) lgkmcnt(0)
	v_add_f32_e64 v50, v66, v54
	v_add_f32_e64 v51, v67, v55
	s_waitcnt vmcnt(0)
	v_add_f32_e64 v50, v50, v62
	v_add_f32_e64 v51, v51, v63
	v_mfma_f32_16x16x4_f32 v[10:13], v23, v27, v[10:13]
	v_mul_f32_e32 v26, 0x3d92220c, v50
	v_fma_f32 v26, -v50, v26, s8
	v_mul_f32_e32 v26, v50, v26
	v_mul_f32_e32 v52, 0x3fb8aa3b, v26
	v_fma_f32 v53, v26, s11, -v52
	v_rndne_f32_e32 v54, v52
	v_fmac_f32_e32 v53, 0x32a5705f, v26
	v_sub_f32_e32 v52, v52, v54
	v_add_f32_e32 v52, v52, v53
	v_exp_f32_e32 v52, v52
	v_cvt_i32_f32_e32 v53, v54
	v_mul_f32_e32 v46, 0x3d92220c, v51
	v_fma_f32 v46, -v51, v46, s8
	v_mul_f32_e32 v46, v51, v46
	v_ldexp_f32 v38, v52, v53
	v_mul_f32_e32 v52, 0x3fb8aa3b, v46
	v_fma_f32 v53, v46, s11, -v52
	v_rndne_f32_e32 v54, v52
	v_fmac_f32_e32 v53, 0x32a5705f, v46
	v_sub_f32_e32 v52, v52, v54
	v_add_f32_e32 v52, v52, v53
	v_exp_f32_e32 v53, v52
	v_cvt_i32_f32_e32 v54, v54
	v_cmp_ngt_f32_e32 vcc, s9, v26
	v_mfma_f32_16x16x4_f32 v[10:13], v24, v28, v[10:13]
	s_nop 0
	v_cndmask_b32_e32 v38, 0, v38, vcc
	v_cmp_nlt_f32_e32 vcc, s10, v26
	v_ldexp_f32 v26, v53, v54
	s_nop 0
	v_cndmask_b32_e32 v52, v190, v38, vcc
	v_cmp_ngt_f32_e32 vcc, s9, v46
	v_mfma_f32_16x16x4_f32 v[10:13], v25, v29, v[10:13]
	s_nop 0
	v_cndmask_b32_e32 v26, 0, v26, vcc
	v_cmp_nlt_f32_e32 vcc, s10, v46
	v_add_f32_e64 v46, v68, v56
	v_add_f32_e64 v47, v69, v57
	v_cndmask_b32_e32 v53, v190, v26, vcc
	v_pk_add_f32 v[52:53], v[52:53], 1.0 op_sel_hi:[1,0]
	v_pk_add_f32 v[46:47], v[46:47], v[64:65]
	v_frexp_mant_f32_e32 v26, v52
	v_rcp_f32_e32 v26, v26
	v_frexp_exp_i32_f32_e32 v38, v52
	v_sub_u32_e32 v38, 0, v38
	v_mul_f32_e32 v52, 0x3d92220c, v46
	v_ldexp_f32 v38, v26, v38
	v_frexp_mant_f32_e32 v26, v53
	v_fma_f32 v52, -v46, v52, s8
	v_rcp_f32_e32 v26, v26
	v_mul_f32_e32 v52, v46, v52
	v_frexp_exp_i32_f32_e32 v39, v53
	v_mul_f32_e32 v53, 0x3fb8aa3b, v52
	v_fma_f32 v54, v52, s11, -v53
	v_rndne_f32_e32 v55, v53
	v_fmac_f32_e32 v54, 0x32a5705f, v52
	v_sub_f32_e32 v53, v53, v55
	v_sub_u32_e32 v39, 0, v39
	v_add_f32_e32 v53, v53, v54
	v_ldexp_f32 v39, v26, v39
	v_exp_f32_e32 v53, v53
	v_cvt_i32_f32_e32 v54, v55
	v_pk_mul_f32 v[50:51], v[50:51], v[38:39]
	v_mul_f32_e32 v38, 0x3d92220c, v47
	v_fma_f32 v38, -v47, v38, s8
	v_mul_f32_e32 v39, v47, v38
	v_mul_f32_e32 v38, 0x3fb8aa3b, v39
	v_ldexp_f32 v26, v53, v54
	v_fma_f32 v53, v39, s11, -v38
	v_rndne_f32_e32 v54, v38
	v_fmac_f32_e32 v53, 0x32a5705f, v39
	v_sub_f32_e32 v38, v38, v54
	v_add_f32_e32 v38, v38, v53
	v_exp_f32_e32 v53, v38
	v_cvt_i32_f32_e32 v54, v54
	v_cmp_ngt_f32_e32 vcc, s9, v52
	s_nop 1
	v_cndmask_b32_e32 v26, 0, v26, vcc
	v_cmp_nlt_f32_e32 vcc, s10, v52
	s_nop 1
	v_cndmask_b32_e32 v38, v190, v26, vcc
	v_ldexp_f32 v26, v53, v54
	v_cmp_ngt_f32_e32 vcc, s9, v39
	s_nop 1
	v_cndmask_b32_e32 v26, 0, v26, vcc
	v_cmp_nlt_f32_e32 vcc, s10, v39
	s_nop 1
	v_cndmask_b32_e32 v39, v190, v26, vcc
	v_pk_add_f32 v[38:39], v[38:39], 1.0 op_sel_hi:[1,0]
	s_nop 0
	v_frexp_mant_f32_e32 v26, v38
	v_rcp_f32_e32 v26, v26
	v_frexp_mant_f32_e32 v52, v39
	v_frexp_exp_i32_f32_e32 v38, v38
	v_rcp_f32_e32 v52, v52
	v_sub_u32_e32 v38, 0, v38
	v_ldexp_f32 v38, v26, v38
	v_frexp_exp_i32_f32_e32 v26, v39
	v_sub_u32_e32 v26, 0, v26
	v_ldexp_f32 v39, v52, v26
	v_pk_mul_f32 v[52:53], v[46:47], v[38:39]
	buffer_store_dwordx4 v[50:53], v18, s[12:15], 0 offen offset:128
	s_waitcnt lgkmcnt(0)
	s_barrier
	ds_write2_b32 v191, v58, v59 offset1:32
	ds_write2_b32 v191, v60, v61 offset0:64 offset1:96
	s_waitcnt lgkmcnt(0)
	s_barrier
	buffer_load_dwordx4 v[50:53], v79, s[0:3], 0 offen offset:256
	buffer_load_dwordx4 v[54:57], v80, s[4:7], 0 offen offset:256
	ds_read_b128 v[58:61], v192
	s_waitcnt vmcnt(1) lgkmcnt(0)
	v_pk_add_f32 v[38:39], v[58:59], v[50:51]
	s_waitcnt vmcnt(0)
	v_pk_add_f32 v[38:39], v[38:39], v[54:55]
	s_nop 0
	v_mul_f32_e32 v26, 0x3d92220c, v38
	v_fma_f32 v26, -v38, v26, s8
	v_mul_f32_e32 v26, v38, v26
	v_mul_f32_e32 v40, 0x3fb8aa3b, v26
	v_fma_f32 v46, v26, s11, -v40
	v_rndne_f32_e32 v47, v40
	v_fmac_f32_e32 v46, 0x32a5705f, v26
	v_sub_f32_e32 v40, v40, v47
	v_add_f32_e32 v40, v40, v46
	v_exp_f32_e32 v40, v40
	v_cvt_i32_f32_e32 v46, v47
	v_mul_f32_e32 v41, 0x3d92220c, v39
	v_fma_f32 v41, -v39, v41, s8
	v_mul_f32_e32 v41, v39, v41
	v_ldexp_f32 v40, v40, v46
	v_mul_f32_e32 v46, 0x3fb8aa3b, v41
	v_fma_f32 v47, v41, s11, -v46
	v_rndne_f32_e32 v48, v46
	v_fmac_f32_e32 v47, 0x32a5705f, v41
	v_sub_f32_e32 v46, v46, v48
	v_add_f32_e32 v46, v46, v47
	v_exp_f32_e32 v46, v46
	v_cvt_i32_f32_e32 v47, v48
	v_cmp_ngt_f32_e32 vcc, s9, v26
	s_nop 1
	v_cndmask_b32_e32 v40, 0, v40, vcc
	v_cmp_nlt_f32_e32 vcc, s10, v26
	v_ldexp_f32 v26, v46, v47
	v_pk_add_f32 v[46:47], v[60:61], v[52:53]
	v_cndmask_b32_e32 v40, v190, v40, vcc
	v_cmp_ngt_f32_e32 vcc, s9, v41
	v_pk_add_f32 v[46:47], v[46:47], v[56:57]
	s_nop 0
	v_cndmask_b32_e32 v26, 0, v26, vcc
	v_cmp_nlt_f32_e32 vcc, s10, v41
	v_mul_f32_e32 v34, 0x3d92220c, v46
	v_fma_f32 v34, -v46, v34, s8
	v_cndmask_b32_e32 v41, v190, v26, vcc
	v_pk_add_f32 v[40:41], v[40:41], 1.0 op_sel_hi:[1,0]
	v_mul_f32_e32 v34, v46, v34
	v_frexp_mant_f32_e32 v26, v40
	v_rcp_f32_e32 v26, v26
	v_frexp_exp_i32_f32_e32 v22, v40
	v_sub_u32_e32 v22, 0, v22
	v_cmp_ngt_f32_e32 vcc, s9, v34
	v_ldexp_f32 v40, v26, v22
	v_frexp_mant_f32_e32 v22, v41
	v_frexp_exp_i32_f32_e32 v26, v41
	v_rcp_f32_e32 v22, v22
	v_mul_f32_e32 v41, 0x3fb8aa3b, v34
	v_fma_f32 v48, v34, s11, -v41
	v_rndne_f32_e32 v49, v41
	v_fmac_f32_e32 v48, 0x32a5705f, v34
	v_sub_f32_e32 v41, v41, v49
	v_add_f32_e32 v41, v41, v48
	v_sub_u32_e32 v26, 0, v26
	v_exp_f32_e32 v48, v41
	v_cvt_i32_f32_e32 v49, v49
	v_ldexp_f32 v41, v22, v26
	v_mul_f32_e32 v26, 0x3d92220c, v47
	v_fma_f32 v26, -v47, v26, s8
	v_mul_f32_e32 v26, v47, v26
	v_pk_mul_f32 v[38:39], v[38:39], v[40:41]
	v_mul_f32_e32 v40, 0x3fb8aa3b, v26
	v_ldexp_f32 v22, v48, v49
	v_fma_f32 v41, v26, s11, -v40
	v_rndne_f32_e32 v48, v40
	v_fmac_f32_e32 v41, 0x32a5705f, v26
	v_sub_f32_e32 v40, v40, v48
	v_add_f32_e32 v40, v40, v41
	v_exp_f32_e32 v41, v40
	v_cvt_i32_f32_e32 v48, v48
	v_cndmask_b32_e32 v22, 0, v22, vcc
	v_cmp_nlt_f32_e32 vcc, s10, v34
	s_nop 1
	v_cndmask_b32_e32 v40, v190, v22, vcc
	v_ldexp_f32 v22, v41, v48
	v_cmp_ngt_f32_e32 vcc, s9, v26
	s_nop 1
	v_cndmask_b32_e32 v22, 0, v22, vcc
	v_cmp_nlt_f32_e32 vcc, s10, v26
	s_nop 1
	v_cndmask_b32_e32 v41, v190, v22, vcc
	v_pk_add_f32 v[40:41], v[40:41], 1.0 op_sel_hi:[1,0]
	s_nop 0
	v_frexp_mant_f32_e32 v22, v40
	v_rcp_f32_e32 v22, v22
	v_frexp_mant_f32_e32 v34, v41
	v_frexp_exp_i32_f32_e32 v26, v40
	v_rcp_f32_e32 v34, v34
	v_sub_u32_e32 v26, 0, v26
	v_ldexp_f32 v40, v22, v26
	v_frexp_exp_i32_f32_e32 v22, v41
	v_sub_u32_e32 v22, 0, v22
	v_ldexp_f32 v41, v34, v22
	v_add_u32_e32 v22, 0x60, v6
	v_pk_mul_f32 v[40:41], v[46:47], v[40:41]
	v_add_u32_e32 v26, 0x60, v1
	v_lshlrev_b32_e32 v34, 2, v22
	buffer_store_dwordx4 v[38:41], v18, s[12:15], 0 offen offset:256
	s_waitcnt lgkmcnt(0)
	s_barrier
	ds_write2_b32 v191, v42, v43 offset1:32
	ds_write2_b32 v191, v44, v45 offset0:64 offset1:96
	s_waitcnt lgkmcnt(0)
	s_barrier
	buffer_load_dwordx2 v[42:43], v34, s[0:3], 0 offen
	v_lshlrev_b32_e32 v34, 2, v26
	buffer_load_dwordx2 v[44:45], v34, s[4:7], 0 offen
	s_nop 0
	buffer_load_dwordx2 v[34:35], v79, s[0:3], 0 offen offset:392
	buffer_load_dwordx2 v[46:47], v80, s[4:7], 0 offen offset:392
	ds_read_b128 v[38:41], v192
	v_add_lshl_u32 v22, v22, s18, 2
	v_add_lshl_u32 v1, v1, s17, 2
	s_waitcnt vmcnt(3) lgkmcnt(0)
	v_pk_add_f32 v[38:39], v[38:39], v[42:43]
	s_waitcnt vmcnt(2)
	v_pk_add_f32 v[38:39], v[38:39], v[44:45]
	s_nop 0
	v_mul_f32_e32 v36, 0x3d92220c, v38
	v_fma_f32 v36, -v38, v36, s8
	v_mul_f32_e32 v36, v38, v36
	v_mul_f32_e32 v42, 0x3fb8aa3b, v36
	v_fma_f32 v43, v36, s11, -v42
	v_rndne_f32_e32 v44, v42
	v_fmac_f32_e32 v43, 0x32a5705f, v36
	v_sub_f32_e32 v42, v42, v44
	v_add_f32_e32 v42, v42, v43
	v_exp_f32_e32 v42, v42
	v_cvt_i32_f32_e32 v43, v44
	v_cmp_ngt_f32_e32 vcc, s9, v36
	s_waitcnt vmcnt(1)
	v_pk_add_f32 v[34:35], v[40:41], v[34:35]
	v_add_u32_e32 v44, 0x60, v0
	v_ldexp_f32 v37, v42, v43
	v_mul_f32_e32 v42, 0x3d92220c, v39
	v_fma_f32 v42, -v39, v42, s8
	v_mul_f32_e32 v42, v39, v42
	v_mul_f32_e32 v43, 0x3fb8aa3b, v42
	v_fma_f32 v45, v42, s11, -v43
	v_rndne_f32_e32 v48, v43
	v_fmac_f32_e32 v45, 0x32a5705f, v42
	v_sub_f32_e32 v43, v43, v48
	v_add_f32_e32 v43, v43, v45
	v_exp_f32_e32 v43, v43
	v_cvt_i32_f32_e32 v45, v48
	v_cndmask_b32_e32 v37, 0, v37, vcc
	v_cmp_nlt_f32_e32 vcc, s10, v36
	s_waitcnt vmcnt(0)
	v_pk_add_f32 v[34:35], v[34:35], v[46:47]
	v_cndmask_b32_e32 v36, v190, v37, vcc
	v_ldexp_f32 v37, v43, v45
	v_cmp_ngt_f32_e32 vcc, s9, v42
	v_mul_f32_e32 v40, 0x3d92220c, v34
	v_fma_f32 v40, -v34, v40, s8
	v_cndmask_b32_e32 v37, 0, v37, vcc
	v_cmp_nlt_f32_e32 vcc, s10, v42
	v_mul_f32_e32 v40, v34, v40
	v_mul_f32_e32 v41, 0x3fb8aa3b, v40
	v_cndmask_b32_e32 v37, v190, v37, vcc
	v_pk_add_f32 v[36:37], v[36:37], 1.0 op_sel_hi:[1,0]
	v_cmp_ngt_f32_e32 vcc, s9, v40
	v_frexp_mant_f32_e32 v42, v36
	v_frexp_mant_f32_e32 v43, v37
	v_rcp_f32_e32 v42, v42
	v_rcp_f32_e32 v43, v43
	v_frexp_exp_i32_f32_e32 v36, v36
	v_frexp_exp_i32_f32_e32 v37, v37
	v_sub_u32_e32 v36, 0, v36
	v_sub_u32_e32 v37, 0, v37
	v_ldexp_f32 v36, v42, v36
	v_ldexp_f32 v37, v43, v37
	v_fma_f32 v42, v40, s11, -v41
	v_rndne_f32_e32 v43, v41
	v_fmac_f32_e32 v42, 0x32a5705f, v40
	v_sub_f32_e32 v41, v41, v43
	v_add_f32_e32 v41, v41, v42
	v_pk_mul_f32 v[36:37], v[38:39], v[36:37]
	v_lshlrev_b32_e32 v38, 2, v44
	v_exp_f32_e32 v41, v41
	v_cvt_i32_f32_e32 v42, v43
	buffer_store_dwordx2 v[36:37], v38, s[12:15], 0 offen
	v_mul_f32_e32 v37, 0x3d92220c, v35
	v_fma_f32 v37, -v35, v37, s8
	v_mul_f32_e32 v37, v35, v37
	v_mul_f32_e32 v38, 0x3fb8aa3b, v37
	v_ldexp_f32 v36, v41, v42
	v_fma_f32 v39, v37, s11, -v38
	v_rndne_f32_e32 v41, v38
	v_fmac_f32_e32 v39, 0x32a5705f, v37
	v_sub_f32_e32 v38, v38, v41
	v_add_f32_e32 v38, v38, v39
	v_exp_f32_e32 v38, v38
	v_cvt_i32_f32_e32 v39, v41
	v_cndmask_b32_e32 v36, 0, v36, vcc
	v_cmp_nlt_f32_e32 vcc, s10, v40
	v_add_lshl_u32 v42, v26, s17, 2
	v_ldexp_f32 v38, v38, v39
	v_cndmask_b32_e32 v36, v190, v36, vcc
	v_cmp_ngt_f32_e32 vcc, s9, v37
	s_nop 1
	v_cndmask_b32_e32 v38, 0, v38, vcc
	v_cmp_nlt_f32_e32 vcc, s10, v37
	s_nop 1
	v_cndmask_b32_e32 v37, v190, v38, vcc
	v_pk_add_f32 v[36:37], v[36:37], 1.0 op_sel_hi:[1,0]
	s_nop 0
	v_frexp_mant_f32_e32 v38, v36
	v_frexp_mant_f32_e32 v39, v37
	v_rcp_f32_e32 v38, v38
	v_rcp_f32_e32 v39, v39
	v_frexp_exp_i32_f32_e32 v36, v36
	v_frexp_exp_i32_f32_e32 v37, v37
	v_sub_u32_e32 v36, 0, v36
	v_sub_u32_e32 v37, 0, v37
	v_ldexp_f32 v36, v38, v36
	v_ldexp_f32 v37, v39, v37
	v_pk_mul_f32 v[34:35], v[34:35], v[36:37]
	buffer_store_dwordx2 v[34:35], v18, s[12:15], 0 offen offset:392
	s_waitcnt lgkmcnt(0)
	s_barrier
	ds_write2_b32 v191, v2, v3 offset1:32
	ds_write2_b32 v191, v4, v5 offset0:64 offset1:96
	s_waitcnt lgkmcnt(0)
	s_barrier
	buffer_load_dwordx4 v[2:5], v22, s[0:3], 0 offen
	buffer_load_dwordx4 v[34:37], v42, s[4:7], 0 offen
	ds_read_b128 v[38:41], v192
	s_waitcnt vmcnt(1) lgkmcnt(0)
	v_pk_add_f32 v[2:3], v[38:39], v[2:3]
	s_waitcnt vmcnt(0)
	v_pk_add_f32 v[2:3], v[2:3], v[34:35]
	v_pk_add_f32 v[4:5], v[40:41], v[4:5]
	v_mul_f32_e32 v18, 0x3d92220c, v2
	v_fma_f32 v18, -v2, v18, s8
	v_mul_f32_e32 v18, v2, v18
	v_mul_f32_e32 v26, 0x3fb8aa3b, v18
	v_fma_f32 v27, v18, s11, -v26
	v_rndne_f32_e32 v34, v26
	v_fmac_f32_e32 v27, 0x32a5705f, v18
	v_sub_f32_e32 v26, v26, v34
	v_add_f32_e32 v26, v26, v27
	v_exp_f32_e32 v26, v26
	v_cvt_i32_f32_e32 v27, v34
	v_cmp_ngt_f32_e32 vcc, s9, v18
	v_pk_add_f32 v[4:5], v[4:5], v[36:37]
	v_ldexp_f32 v26, v26, v27
	v_mul_f32_e32 v27, 0x3d92220c, v3
	v_fma_f32 v27, -v3, v27, s8
	v_mul_f32_e32 v27, v3, v27
	v_mul_f32_e32 v28, 0x3fb8aa3b, v27
	v_fma_f32 v34, v27, s11, -v28
	v_rndne_f32_e32 v35, v28
	v_fmac_f32_e32 v34, 0x32a5705f, v27
	v_sub_f32_e32 v28, v28, v35
	v_add_f32_e32 v28, v28, v34
	v_exp_f32_e32 v28, v28
	v_cvt_i32_f32_e32 v34, v35
	v_cndmask_b32_e32 v26, 0, v26, vcc
	v_cmp_nlt_f32_e32 vcc, s10, v18
	v_ldexp_f32 v18, v28, v34
	s_nop 0
	v_cndmask_b32_e32 v26, v190, v26, vcc
	v_cmp_ngt_f32_e32 vcc, s9, v27
	v_mul_f32_e32 v28, 0x3d92220c, v4
	v_fma_f32 v28, -v4, v28, s8
	v_cndmask_b32_e32 v18, 0, v18, vcc
	v_cmp_nlt_f32_e32 vcc, s10, v27
	v_mul_f32_e32 v28, v4, v28
	v_mul_f32_e32 v29, 0x3fb8aa3b, v28
	v_cndmask_b32_e32 v27, v190, v18, vcc
	v_pk_add_f32 v[26:27], v[26:27], 1.0 op_sel_hi:[1,0]
	v_fma_f32 v34, v28, s11, -v29
	v_frexp_mant_f32_e32 v18, v26
	v_rcp_f32_e32 v18, v18
	v_frexp_exp_i32_f32_e32 v26, v26
	v_sub_u32_e32 v26, 0, v26
	v_rndne_f32_e32 v35, v29
	v_ldexp_f32 v26, v18, v26
	v_frexp_mant_f32_e32 v18, v27
	v_rcp_f32_e32 v18, v18
	v_frexp_exp_i32_f32_e32 v27, v27
	v_sub_u32_e32 v27, 0, v27
	v_fmac_f32_e32 v34, 0x32a5705f, v28
	v_sub_f32_e32 v29, v29, v35
	v_add_f32_e32 v29, v29, v34
	v_ldexp_f32 v27, v18, v27
	v_exp_f32_e32 v29, v29
	v_cvt_i32_f32_e32 v34, v35
	v_pk_mul_f32 v[2:3], v[2:3], v[26:27]
	v_mul_f32_e32 v26, 0x3d92220c, v5
	v_fma_f32 v26, -v5, v26, s8
	v_mul_f32_e32 v27, v5, v26
	v_mul_f32_e32 v26, 0x3fb8aa3b, v27
	v_ldexp_f32 v18, v29, v34
	v_fma_f32 v29, v27, s11, -v26
	v_rndne_f32_e32 v34, v26
	v_fmac_f32_e32 v29, 0x32a5705f, v27
	v_sub_f32_e32 v26, v26, v34
	v_add_f32_e32 v26, v26, v29
	v_exp_f32_e32 v29, v26
	v_cvt_i32_f32_e32 v34, v34
	v_cmp_ngt_f32_e32 vcc, s9, v28
	v_add_lshl_u32 v35, v44, s16, 2
	s_nop 0
	v_cndmask_b32_e32 v18, 0, v18, vcc
	v_cmp_nlt_f32_e32 vcc, s10, v28
	s_nop 1
	v_cndmask_b32_e32 v26, v190, v18, vcc
	v_ldexp_f32 v18, v29, v34
	v_cmp_ngt_f32_e32 vcc, s9, v27
	s_nop 1
	v_cndmask_b32_e32 v18, 0, v18, vcc
	v_cmp_nlt_f32_e32 vcc, s10, v27
	s_nop 1
	v_cndmask_b32_e32 v27, v190, v18, vcc
	v_pk_add_f32 v[26:27], v[26:27], 1.0 op_sel_hi:[1,0]
	s_nop 0
	v_frexp_mant_f32_e32 v18, v26
	v_rcp_f32_e32 v18, v18
	v_frexp_mant_f32_e32 v28, v27
	v_frexp_exp_i32_f32_e32 v26, v26
	v_rcp_f32_e32 v28, v28
	v_sub_u32_e32 v26, 0, v26
	v_ldexp_f32 v26, v18, v26
	v_frexp_exp_i32_f32_e32 v18, v27
	v_sub_u32_e32 v18, 0, v18
	v_ldexp_f32 v27, v28, v18
	v_pk_mul_f32 v[4:5], v[4:5], v[26:27]
	buffer_store_dwordx4 v[2:5], v35, s[12:15], 0 offen
	s_waitcnt lgkmcnt(0)
	s_barrier
	v_add_u32_e32 v2, 0xffffff80, v22
	ds_write2_b32 v191, v10, v11 offset1:32
	ds_write2_b32 v191, v12, v13 offset0:64 offset1:96
	s_waitcnt lgkmcnt(0)
	s_barrier
	buffer_load_dwordx2 v[26:27], v2, s[0:3], 0 offen
	v_add_u32_e32 v2, 0xffffff80, v42
	buffer_load_dwordx2 v[28:29], v2, s[4:7], 0 offen
	v_add_u32_e32 v10, 0xffffff88, v22
	v_mfma_f32_16x16x4_f32 v[2:5], v23, v19, v[14:17]
	buffer_load_dwordx2 v[14:15], v10, s[0:3], 0 offen
	v_add_u32_e32 v10, 0xffffff88, v42
	buffer_load_dwordx2 v[16:17], v10, s[4:7], 0 offen
	ds_read_b128 v[10:13], v192
	s_waitcnt vmcnt(3) lgkmcnt(0)
	v_pk_add_f32 v[10:11], v[10:11], v[26:27]
	v_mfma_f32_16x16x4_f32 v[2:5], v24, v20, v[2:5]
	s_waitcnt vmcnt(2)
	v_add_f32_e64 v10, v10, v28
	v_add_f32_e64 v11, v11, v29
	s_waitcnt vmcnt(1)
	v_add_f32_e64 v12, v12, v14
	v_add_f32_e64 v13, v13, v15
	v_mul_f32_e32 v18, 0x3d92220c, v10
	v_fma_f32 v18, -v10, v18, s8
	v_mul_f32_e32 v18, v10, v18
	v_mul_f32_e32 v19, 0x3fb8aa3b, v18
	v_fma_f32 v20, v18, s11, -v19
	v_rndne_f32_e32 v26, v19
	v_fmac_f32_e32 v20, 0x32a5705f, v18
	v_sub_f32_e32 v19, v19, v26
	v_add_f32_e32 v19, v19, v20
	v_exp_f32_e32 v19, v19
	v_cvt_i32_f32_e32 v20, v26
	v_mfma_f32_16x16x4_f32 v[2:5], v25, v21, v[2:5]
	v_cmp_ngt_f32_e32 vcc, s9, v18
	s_waitcnt vmcnt(0)
	v_add_f32_e64 v12, v12, v16
	v_add_f32_e64 v13, v13, v17
	v_ldexp_f32 v19, v19, v20
	v_mul_f32_e32 v20, 0x3d92220c, v11
	v_fma_f32 v20, -v11, v20, s8
	v_mul_f32_e32 v20, v11, v20
	v_mul_f32_e32 v21, 0x3fb8aa3b, v20
	v_fma_f32 v26, v20, s11, -v21
	v_rndne_f32_e32 v27, v21
	v_fmac_f32_e32 v26, 0x32a5705f, v20
	v_sub_f32_e32 v21, v21, v27
	v_add_f32_e32 v21, v21, v26
	v_exp_f32_e32 v21, v21
	v_cvt_i32_f32_e32 v26, v27
	v_cndmask_b32_e32 v19, 0, v19, vcc
	v_cmp_nlt_f32_e32 vcc, s10, v18
	v_mul_f32_e32 v14, 0x3d92220c, v12
	v_fma_f32 v14, -v12, v14, s8
	v_cndmask_b32_e32 v18, v190, v19, vcc
	v_ldexp_f32 v19, v21, v26
	v_cmp_ngt_f32_e32 vcc, s9, v20
	v_mul_f32_e32 v14, v12, v14
	v_mul_f32_e32 v15, 0x3fb8aa3b, v14
	v_cndmask_b32_e32 v19, 0, v19, vcc
	v_cmp_nlt_f32_e32 vcc, s10, v20
	v_fma_f32 v16, v14, s11, -v15
	v_rndne_f32_e32 v17, v15
	v_cndmask_b32_e32 v19, v190, v19, vcc
	v_pk_add_f32 v[18:19], v[18:19], 1.0 op_sel_hi:[1,0]
	v_fmac_f32_e32 v16, 0x32a5705f, v14
	v_frexp_mant_f32_e32 v20, v18
	v_frexp_mant_f32_e32 v21, v19
	v_rcp_f32_e32 v20, v20
	v_rcp_f32_e32 v21, v21
	v_frexp_exp_i32_f32_e32 v18, v18
	v_frexp_exp_i32_f32_e32 v19, v19
	v_sub_u32_e32 v18, 0, v18
	v_sub_u32_e32 v19, 0, v19
	v_sub_f32_e32 v15, v15, v17
	v_ldexp_f32 v18, v20, v18
	v_ldexp_f32 v19, v21, v19
	v_add_f32_e32 v15, v15, v16
	v_exp_f32_e32 v15, v15
	v_cvt_i32_f32_e32 v16, v17
	v_pk_mul_f32 v[10:11], v[10:11], v[18:19]
	v_add_u32_e32 v17, 0xffffff80, v35
	buffer_store_dwordx2 v[10:11], v17, s[12:15], 0 offen
	v_mul_f32_e32 v11, 0x3d92220c, v13
	v_fma_f32 v11, -v13, v11, s8
	v_mul_f32_e32 v11, v13, v11
	v_ldexp_f32 v10, v15, v16
	v_mul_f32_e32 v15, 0x3fb8aa3b, v11
	v_fma_f32 v16, v11, s11, -v15
	v_rndne_f32_e32 v17, v15
	v_fmac_f32_e32 v16, 0x32a5705f, v11
	v_sub_f32_e32 v15, v15, v17
	v_add_f32_e32 v15, v15, v16
	v_exp_f32_e32 v15, v15
	v_cvt_i32_f32_e32 v16, v17
	v_cmp_ngt_f32_e32 vcc, s9, v14
	s_nop 1
	v_cndmask_b32_e32 v10, 0, v10, vcc
	v_cmp_nlt_f32_e32 vcc, s10, v14
	v_ldexp_f32 v14, v15, v16
	s_nop 0
	v_cndmask_b32_e32 v10, v190, v10, vcc
	v_cmp_ngt_f32_e32 vcc, s9, v11
	s_nop 1
	v_cndmask_b32_e32 v14, 0, v14, vcc
	v_cmp_nlt_f32_e32 vcc, s10, v11
	s_nop 1
	v_cndmask_b32_e32 v11, v190, v14, vcc
	v_pk_add_f32 v[10:11], v[10:11], 1.0 op_sel_hi:[1,0]
	s_nop 0
	v_frexp_mant_f32_e32 v14, v10
	v_frexp_mant_f32_e32 v15, v11
	v_rcp_f32_e32 v14, v14
	v_rcp_f32_e32 v15, v15
	v_frexp_exp_i32_f32_e32 v10, v10
	v_frexp_exp_i32_f32_e32 v11, v11
	v_sub_u32_e32 v10, 0, v10
	v_sub_u32_e32 v11, 0, v11
	v_ldexp_f32 v10, v14, v10
	v_ldexp_f32 v11, v15, v11
	v_pk_mul_f32 v[10:11], v[12:13], v[10:11]
	v_add_u32_e32 v12, 0xffffff88, v35
	buffer_store_dwordx2 v[10:11], v12, s[12:15], 0 offen
	s_waitcnt lgkmcnt(0)
	s_barrier
	ds_write2_b32 v191, v2, v3 offset1:32
	ds_write2_b32 v191, v4, v5 offset0:64 offset1:96
	v_add_u32_e32 v2, 0xffffff00, v22
	s_waitcnt lgkmcnt(0)
	s_barrier
	buffer_load_dwordx2 v[14:15], v2, s[0:3], 0 offen
	v_add_u32_e32 v2, 0xffffff00, v42
	buffer_load_dwordx2 v[16:17], v2, s[4:7], 0 offen
	v_mfma_f32_16x16x4_f32 v[2:5], v23, v7, v[30:33]
	v_add_u32_e32 v7, 0xffffff08, v22
	buffer_load_dwordx2 v[18:19], v7, s[0:3], 0 offen
	v_add_u32_e32 v7, 0xffffff08, v42
	buffer_load_dwordx2 v[20:21], v7, s[4:7], 0 offen
	ds_read_b128 v[10:13], v192
	s_waitcnt vmcnt(3) lgkmcnt(0)
	v_pk_add_f32 v[10:11], v[10:11], v[14:15]
	v_mfma_f32_16x16x4_f32 v[2:5], v24, v8, v[2:5]
	s_waitcnt vmcnt(2)
	v_add_f32_e64 v10, v10, v16
	v_add_f32_e64 v11, v11, v17
	s_waitcnt vmcnt(1)
	v_add_f32_e64 v12, v12, v18
	v_add_f32_e64 v13, v13, v19
	v_mul_f32_e32 v7, 0x3d92220c, v10
	v_fma_f32 v7, -v10, v7, s8
	v_mul_f32_e32 v7, v10, v7
	v_mul_f32_e32 v8, 0x3fb8aa3b, v7
	v_fma_f32 v14, v7, s11, -v8
	v_rndne_f32_e32 v15, v8
	v_fmac_f32_e32 v14, 0x32a5705f, v7
	v_sub_f32_e32 v8, v8, v15
	v_add_f32_e32 v8, v8, v14
	v_exp_f32_e32 v8, v8
	v_cvt_i32_f32_e32 v14, v15
	v_mfma_f32_16x16x4_f32 v[2:5], v25, v9, v[2:5]
	v_mul_f32_e32 v9, 0x3d92220c, v11
	v_fma_f32 v9, -v11, v9, s8
	v_mul_f32_e32 v9, v11, v9
	v_ldexp_f32 v8, v8, v14
	v_mul_f32_e32 v14, 0x3fb8aa3b, v9
	v_fma_f32 v15, v9, s11, -v14
	v_rndne_f32_e32 v16, v14
	v_fmac_f32_e32 v15, 0x32a5705f, v9
	v_sub_f32_e32 v14, v14, v16
	v_add_f32_e32 v14, v14, v15
	v_exp_f32_e32 v14, v14
	v_cvt_i32_f32_e32 v15, v16
	v_cmp_ngt_f32_e32 vcc, s9, v7
	s_waitcnt vmcnt(0)
	v_pk_add_f32 v[12:13], v[12:13], v[20:21]
	v_cndmask_b32_e32 v8, 0, v8, vcc
	v_cmp_nlt_f32_e32 vcc, s10, v7
	v_ldexp_f32 v7, v14, v15
	s_nop 0
	v_cndmask_b32_e32 v8, v190, v8, vcc
	v_cmp_ngt_f32_e32 vcc, s9, v9
	s_nop 1
	v_cndmask_b32_e32 v7, 0, v7, vcc
	v_cmp_nlt_f32_e32 vcc, s10, v9
	s_nop 1
	v_cndmask_b32_e32 v9, v190, v7, vcc
	v_pk_add_f32 v[8:9], v[8:9], 1.0 op_sel_hi:[1,0]
	s_nop 0
	v_frexp_mant_f32_e32 v7, v8
	v_rcp_f32_e32 v7, v7
	v_frexp_mant_f32_e32 v14, v9
	v_frexp_exp_i32_f32_e32 v8, v8
	v_rcp_f32_e32 v14, v14
	v_sub_u32_e32 v8, 0, v8
	v_ldexp_f32 v8, v7, v8
	v_frexp_exp_i32_f32_e32 v7, v9
	v_sub_u32_e32 v7, 0, v7
	v_ldexp_f32 v9, v14, v7
	v_mul_f32_e32 v7, 0x3d92220c, v12
	v_fma_f32 v7, -v12, v7, s8
	v_mul_f32_e32 v7, v12, v7
	v_mul_f32_e32 v14, 0x3fb8aa3b, v7
	v_fma_f32 v15, v7, s11, -v14
	v_rndne_f32_e32 v16, v14
	v_fmac_f32_e32 v15, 0x32a5705f, v7
	v_sub_f32_e32 v14, v14, v16
	v_add_f32_e32 v14, v14, v15
	v_pk_mul_f32 v[8:9], v[10:11], v[8:9]
	v_add_u32_e32 v10, 0xffffff00, v35
	v_exp_f32_e32 v14, v14
	v_cvt_i32_f32_e32 v15, v16
	buffer_store_dwordx2 v[8:9], v10, s[12:15], 0 offen
	v_mul_f32_e32 v9, 0x3d92220c, v13
	v_fma_f32 v9, -v13, v9, s8
	v_mul_f32_e32 v9, v13, v9
	v_mul_f32_e32 v10, 0x3fb8aa3b, v9
	v_ldexp_f32 v8, v14, v15
	v_fma_f32 v11, v9, s11, -v10
	v_rndne_f32_e32 v14, v10
	v_fmac_f32_e32 v11, 0x32a5705f, v9
	v_sub_f32_e32 v10, v10, v14
	v_add_f32_e32 v10, v10, v11
	v_exp_f32_e32 v10, v10
	v_cvt_i32_f32_e32 v11, v14
	v_cmp_ngt_f32_e32 vcc, s9, v7
	s_nop 1
	v_cndmask_b32_e32 v8, 0, v8, vcc
	v_cmp_nlt_f32_e32 vcc, s10, v7
	v_ldexp_f32 v7, v10, v11
	s_nop 0
	v_cndmask_b32_e32 v8, v190, v8, vcc
	v_cmp_ngt_f32_e32 vcc, s9, v9
	s_nop 1
	v_cndmask_b32_e32 v7, 0, v7, vcc
	v_cmp_nlt_f32_e32 vcc, s10, v9
	s_nop 1
	v_cndmask_b32_e32 v9, v190, v7, vcc
	v_pk_add_f32 v[8:9], v[8:9], 1.0 op_sel_hi:[1,0]
	s_nop 0
	v_frexp_mant_f32_e32 v7, v8
	v_rcp_f32_e32 v7, v7
	v_frexp_mant_f32_e32 v10, v9
	v_frexp_exp_i32_f32_e32 v8, v8
	v_rcp_f32_e32 v10, v10
	v_sub_u32_e32 v8, 0, v8
	v_ldexp_f32 v8, v7, v8
	v_frexp_exp_i32_f32_e32 v7, v9
	v_sub_u32_e32 v7, 0, v7
	v_ldexp_f32 v9, v10, v7
	v_pk_mul_f32 v[8:9], v[12:13], v[8:9]
	v_add_u32_e32 v7, 0xffffff08, v35
	buffer_store_dwordx2 v[8:9], v7, s[12:15], 0 offen
	s_waitcnt lgkmcnt(0)
	s_barrier
	ds_write2_b32 v191, v2, v3 offset1:32
	ds_write2_b32 v191, v4, v5 offset0:64 offset1:96
	v_add_lshl_u32 v2, v6, s18, 2
	s_waitcnt lgkmcnt(0)
	s_barrier
	buffer_load_dwordx4 v[2:5], v2, s[0:3], 0 offen
	ds_read_b128 v[10:13], v192
	buffer_load_dwordx4 v[6:9], v1, s[4:7], 0 offen
	s_waitcnt vmcnt(1) lgkmcnt(0)
	v_pk_add_f32 v[2:3], v[10:11], v[2:3]
	v_pk_add_f32 v[4:5], v[12:13], v[4:5]
	s_waitcnt vmcnt(0)
	v_pk_add_f32 v[2:3], v[2:3], v[6:7]
	v_pk_add_f32 v[4:5], v[4:5], v[8:9]
	v_mul_f32_e32 v1, 0x3d92220c, v2
	v_fma_f32 v1, -v2, v1, s8
	v_mul_f32_e32 v1, v2, v1
	v_mul_f32_e32 v6, 0x3fb8aa3b, v1
	v_fma_f32 v7, v1, s11, -v6
	v_rndne_f32_e32 v10, v6
	v_fmac_f32_e32 v7, 0x32a5705f, v1
	v_sub_f32_e32 v6, v6, v10
	v_add_f32_e32 v6, v6, v7
	v_exp_f32_e32 v6, v6
	v_cvt_i32_f32_e32 v7, v10
	v_cmp_ngt_f32_e32 vcc, s9, v1
	v_mul_f32_e32 v8, 0x3d92220c, v4
	v_fma_f32 v8, -v4, v8, s8
	v_ldexp_f32 v6, v6, v7
	v_mul_f32_e32 v7, 0x3d92220c, v3
	v_fma_f32 v7, -v3, v7, s8
	v_mul_f32_e32 v7, v3, v7
	v_mul_f32_e32 v10, 0x3fb8aa3b, v7
	v_fma_f32 v11, v7, s11, -v10
	v_rndne_f32_e32 v14, v10
	v_fmac_f32_e32 v11, 0x32a5705f, v7
	v_sub_f32_e32 v10, v10, v14
	v_add_f32_e32 v10, v10, v11
	v_exp_f32_e32 v10, v10
	v_cvt_i32_f32_e32 v11, v14
	v_cndmask_b32_e32 v6, 0, v6, vcc
	v_cmp_nlt_f32_e32 vcc, s10, v1
	v_mul_f32_e32 v8, v4, v8
	v_ldexp_f32 v1, v10, v11
	v_cndmask_b32_e32 v6, v190, v6, vcc
	v_cmp_ngt_f32_e32 vcc, s9, v7
	v_mul_f32_e32 v9, 0x3fb8aa3b, v8
	v_fma_f32 v10, v8, s11, -v9
	v_cndmask_b32_e32 v1, 0, v1, vcc
	v_cmp_nlt_f32_e32 vcc, s10, v7
	v_rndne_f32_e32 v11, v9
	v_fmac_f32_e32 v10, 0x32a5705f, v8
	v_cndmask_b32_e32 v7, v190, v1, vcc
	v_pk_add_f32 v[6:7], v[6:7], 1.0 op_sel_hi:[1,0]
	v_sub_f32_e32 v9, v9, v11
	v_frexp_mant_f32_e32 v1, v6
	v_rcp_f32_e32 v1, v1
	v_frexp_exp_i32_f32_e32 v6, v6
	v_sub_u32_e32 v6, 0, v6
	v_add_f32_e32 v9, v9, v10
	v_ldexp_f32 v6, v1, v6
	v_frexp_mant_f32_e32 v1, v7
	v_rcp_f32_e32 v1, v1
	v_frexp_exp_i32_f32_e32 v7, v7
	v_sub_u32_e32 v7, 0, v7
	v_exp_f32_e32 v9, v9
	v_cvt_i32_f32_e32 v10, v11
	v_ldexp_f32 v7, v1, v7
	v_mul_f32_e32 v1, 0x3d92220c, v5
	v_fma_f32 v1, -v5, v1, s8
	v_mul_f32_e32 v1, v5, v1
	v_pk_mul_f32 v[2:3], v[2:3], v[6:7]
	v_mul_f32_e32 v7, 0x3fb8aa3b, v1
	v_add_lshl_u32 v6, v0, s16, 2
	v_ldexp_f32 v0, v9, v10
	v_fma_f32 v9, v1, s11, -v7
	v_rndne_f32_e32 v10, v7
	v_fmac_f32_e32 v9, 0x32a5705f, v1
	v_sub_f32_e32 v7, v7, v10
	v_add_f32_e32 v7, v7, v9
	v_exp_f32_e32 v7, v7
	v_cvt_i32_f32_e32 v9, v10
	v_cmp_ngt_f32_e32 vcc, s9, v8
	v_ldexp_f32 v7, v7, v9
	s_nop 0
	v_cndmask_b32_e32 v0, 0, v0, vcc
	v_cmp_nlt_f32_e32 vcc, s10, v8
	s_nop 1
	v_cndmask_b32_e32 v0, v190, v0, vcc
	v_cmp_ngt_f32_e32 vcc, s9, v1
	s_nop 1
	v_cndmask_b32_e32 v7, 0, v7, vcc
	v_cmp_nlt_f32_e32 vcc, s10, v1
	s_nop 1
	v_cndmask_b32_e32 v1, v190, v7, vcc
	v_pk_add_f32 v[0:1], v[0:1], 1.0 op_sel_hi:[1,0]
	s_nop 0
	v_frexp_mant_f32_e32 v7, v0
	v_frexp_mant_f32_e32 v8, v1
	v_rcp_f32_e32 v7, v7
	v_rcp_f32_e32 v8, v8
	v_frexp_exp_i32_f32_e32 v0, v0
	v_frexp_exp_i32_f32_e32 v1, v1
	v_sub_u32_e32 v0, 0, v0
	v_sub_u32_e32 v1, 0, v1
	v_ldexp_f32 v0, v7, v0
	v_ldexp_f32 v1, v8, v1
	v_pk_mul_f32 v[4:5], v[4:5], v[0:1]
	buffer_store_dwordx4 v[2:5], v6, s[12:15], 0 offen
	s_endpgm
	.section	.rodata,"a",@progbits
	.p2align	6, 0x0
	.amdhsa_kernel _ZN2ck35kernel_gemm_multiple_d_xdl_cshuffleINS_34GridwiseGemmMultipleD_xdl_cshuffleIfffffNS_5TupleIJffEEEfNS_16tensor_operation12element_wise11PassThroughES6_NS5_14AddAddFastGeluELi1ELi256ELi256ELi128ELi32ELi8ELi8ELi16ELi16ELi8ELi4ENS_8SequenceIJLi4ELi64ELi1EEEENS8_IJLi1ELi0ELi2EEEESA_Li2ELi4ELi4ELb0ELi1ES9_SA_SA_Li2ELi4ELi4ELb0ELi1ELi1ELi1ENS8_IJLi1ELi32ELi1ELi8EEEELi2ELNS_13LoopSchedulerE0ELNS_15PipelineVersionE0EfLb0EEEffNS2_IJPKfSG_EEEfS6_S6_S7_NS_16TensorDescriptorINS2_IJNS_5EmbedINS2_IJiiEEENS2_IJiNS_17integral_constantIiLi1EEEEEELb0EEENS_11PassThroughIiEESQ_NS_7UnMergeINS2_IJiNSL_IiLi8EEEEEELb0EEESQ_EEENS2_IJNS8_IJLi0EEEENS8_IJLi1EEEENS8_IJLi2EEEENS8_IJLi4EEEENS8_IJLi3EEEEEEENS2_IJNS8_IJLi1ELi2EEEES10_SZ_NS8_IJLi5ELi6EEEENS8_IJLi7EEEEEEENS8_IJLi5ELi7ELi6EEEElEES17_NS2_IJNSI_INS2_IJSO_SQ_SQ_NSR_INS2_IJiNSL_IiLi256EEEEEELb0EEENSR_INS2_IJiNSL_IiLi128EEEEEELb0EEEEEENS2_IJSW_SX_SY_S10_SZ_EEENS2_IJS12_S10_SZ_S13_NS8_IJLi7ELi8EEEEEEENS8_IJLi5ELi6ELi7ELi8EEEElEES1J_EEES1J_NS_31BlockToCTileMap_M00_N0_M01AdaptILi256ELi128ENSI_INS2_IJSO_SQ_SQ_EEENS2_IJSW_SX_SY_EEENS2_IJS12_S10_SZ_EEENS8_IJLi3ELi4EEEElEEiEELb1EEEvPKT0_PKT1_T2_PT3_T4_T5_T6_T7_T8_T9_T10_T11_
		.amdhsa_group_segment_fixed_size 49344
		.amdhsa_private_segment_fixed_size 24
		.amdhsa_kernarg_size 364
		.amdhsa_user_sgpr_count 2
		.amdhsa_user_sgpr_dispatch_ptr 0
		.amdhsa_user_sgpr_queue_ptr 0
		.amdhsa_user_sgpr_kernarg_segment_ptr 1
		.amdhsa_user_sgpr_dispatch_id 0
		.amdhsa_user_sgpr_kernarg_preload_length 0
		.amdhsa_user_sgpr_kernarg_preload_offset 0
		.amdhsa_user_sgpr_private_segment_size 0
		.amdhsa_uses_dynamic_stack 0
		.amdhsa_enable_private_segment 1
		.amdhsa_system_sgpr_workgroup_id_x 1
		.amdhsa_system_sgpr_workgroup_id_y 0
		.amdhsa_system_sgpr_workgroup_id_z 0
		.amdhsa_system_sgpr_workgroup_info 0
		.amdhsa_system_vgpr_workitem_id 0
		.amdhsa_next_free_vgpr 256
		.amdhsa_next_free_sgpr 96
		.amdhsa_accum_offset 256
		.amdhsa_reserve_vcc 1
		.amdhsa_float_round_mode_32 0
		.amdhsa_float_round_mode_16_64 0
		.amdhsa_float_denorm_mode_32 3
		.amdhsa_float_denorm_mode_16_64 3
		.amdhsa_dx10_clamp 1
		.amdhsa_ieee_mode 1
		.amdhsa_fp16_overflow 0
		.amdhsa_tg_split 0
		.amdhsa_exception_fp_ieee_invalid_op 0
		.amdhsa_exception_fp_denorm_src 0
		.amdhsa_exception_fp_ieee_div_zero 0
		.amdhsa_exception_fp_ieee_overflow 0
		.amdhsa_exception_fp_ieee_underflow 0
		.amdhsa_exception_fp_ieee_inexact 0
		.amdhsa_exception_int_div_zero 0
	.end_amdhsa_kernel
	.section	.text._ZN2ck35kernel_gemm_multiple_d_xdl_cshuffleINS_34GridwiseGemmMultipleD_xdl_cshuffleIfffffNS_5TupleIJffEEEfNS_16tensor_operation12element_wise11PassThroughES6_NS5_14AddAddFastGeluELi1ELi256ELi256ELi128ELi32ELi8ELi8ELi16ELi16ELi8ELi4ENS_8SequenceIJLi4ELi64ELi1EEEENS8_IJLi1ELi0ELi2EEEESA_Li2ELi4ELi4ELb0ELi1ES9_SA_SA_Li2ELi4ELi4ELb0ELi1ELi1ELi1ENS8_IJLi1ELi32ELi1ELi8EEEELi2ELNS_13LoopSchedulerE0ELNS_15PipelineVersionE0EfLb0EEEffNS2_IJPKfSG_EEEfS6_S6_S7_NS_16TensorDescriptorINS2_IJNS_5EmbedINS2_IJiiEEENS2_IJiNS_17integral_constantIiLi1EEEEEELb0EEENS_11PassThroughIiEESQ_NS_7UnMergeINS2_IJiNSL_IiLi8EEEEEELb0EEESQ_EEENS2_IJNS8_IJLi0EEEENS8_IJLi1EEEENS8_IJLi2EEEENS8_IJLi4EEEENS8_IJLi3EEEEEEENS2_IJNS8_IJLi1ELi2EEEES10_SZ_NS8_IJLi5ELi6EEEENS8_IJLi7EEEEEEENS8_IJLi5ELi7ELi6EEEElEES17_NS2_IJNSI_INS2_IJSO_SQ_SQ_NSR_INS2_IJiNSL_IiLi256EEEEEELb0EEENSR_INS2_IJiNSL_IiLi128EEEEEELb0EEEEEENS2_IJSW_SX_SY_S10_SZ_EEENS2_IJS12_S10_SZ_S13_NS8_IJLi7ELi8EEEEEEENS8_IJLi5ELi6ELi7ELi8EEEElEES1J_EEES1J_NS_31BlockToCTileMap_M00_N0_M01AdaptILi256ELi128ENSI_INS2_IJSO_SQ_SQ_EEENS2_IJSW_SX_SY_EEENS2_IJS12_S10_SZ_EEENS8_IJLi3ELi4EEEElEEiEELb1EEEvPKT0_PKT1_T2_PT3_T4_T5_T6_T7_T8_T9_T10_T11_,"axG",@progbits,_ZN2ck35kernel_gemm_multiple_d_xdl_cshuffleINS_34GridwiseGemmMultipleD_xdl_cshuffleIfffffNS_5TupleIJffEEEfNS_16tensor_operation12element_wise11PassThroughES6_NS5_14AddAddFastGeluELi1ELi256ELi256ELi128ELi32ELi8ELi8ELi16ELi16ELi8ELi4ENS_8SequenceIJLi4ELi64ELi1EEEENS8_IJLi1ELi0ELi2EEEESA_Li2ELi4ELi4ELb0ELi1ES9_SA_SA_Li2ELi4ELi4ELb0ELi1ELi1ELi1ENS8_IJLi1ELi32ELi1ELi8EEEELi2ELNS_13LoopSchedulerE0ELNS_15PipelineVersionE0EfLb0EEEffNS2_IJPKfSG_EEEfS6_S6_S7_NS_16TensorDescriptorINS2_IJNS_5EmbedINS2_IJiiEEENS2_IJiNS_17integral_constantIiLi1EEEEEELb0EEENS_11PassThroughIiEESQ_NS_7UnMergeINS2_IJiNSL_IiLi8EEEEEELb0EEESQ_EEENS2_IJNS8_IJLi0EEEENS8_IJLi1EEEENS8_IJLi2EEEENS8_IJLi4EEEENS8_IJLi3EEEEEEENS2_IJNS8_IJLi1ELi2EEEES10_SZ_NS8_IJLi5ELi6EEEENS8_IJLi7EEEEEEENS8_IJLi5ELi7ELi6EEEElEES17_NS2_IJNSI_INS2_IJSO_SQ_SQ_NSR_INS2_IJiNSL_IiLi256EEEEEELb0EEENSR_INS2_IJiNSL_IiLi128EEEEEELb0EEEEEENS2_IJSW_SX_SY_S10_SZ_EEENS2_IJS12_S10_SZ_S13_NS8_IJLi7ELi8EEEEEEENS8_IJLi5ELi6ELi7ELi8EEEElEES1J_EEES1J_NS_31BlockToCTileMap_M00_N0_M01AdaptILi256ELi128ENSI_INS2_IJSO_SQ_SQ_EEENS2_IJSW_SX_SY_EEENS2_IJS12_S10_SZ_EEENS8_IJLi3ELi4EEEElEEiEELb1EEEvPKT0_PKT1_T2_PT3_T4_T5_T6_T7_T8_T9_T10_T11_,comdat
.Lfunc_end1:
	.size	_ZN2ck35kernel_gemm_multiple_d_xdl_cshuffleINS_34GridwiseGemmMultipleD_xdl_cshuffleIfffffNS_5TupleIJffEEEfNS_16tensor_operation12element_wise11PassThroughES6_NS5_14AddAddFastGeluELi1ELi256ELi256ELi128ELi32ELi8ELi8ELi16ELi16ELi8ELi4ENS_8SequenceIJLi4ELi64ELi1EEEENS8_IJLi1ELi0ELi2EEEESA_Li2ELi4ELi4ELb0ELi1ES9_SA_SA_Li2ELi4ELi4ELb0ELi1ELi1ELi1ENS8_IJLi1ELi32ELi1ELi8EEEELi2ELNS_13LoopSchedulerE0ELNS_15PipelineVersionE0EfLb0EEEffNS2_IJPKfSG_EEEfS6_S6_S7_NS_16TensorDescriptorINS2_IJNS_5EmbedINS2_IJiiEEENS2_IJiNS_17integral_constantIiLi1EEEEEELb0EEENS_11PassThroughIiEESQ_NS_7UnMergeINS2_IJiNSL_IiLi8EEEEEELb0EEESQ_EEENS2_IJNS8_IJLi0EEEENS8_IJLi1EEEENS8_IJLi2EEEENS8_IJLi4EEEENS8_IJLi3EEEEEEENS2_IJNS8_IJLi1ELi2EEEES10_SZ_NS8_IJLi5ELi6EEEENS8_IJLi7EEEEEEENS8_IJLi5ELi7ELi6EEEElEES17_NS2_IJNSI_INS2_IJSO_SQ_SQ_NSR_INS2_IJiNSL_IiLi256EEEEEELb0EEENSR_INS2_IJiNSL_IiLi128EEEEEELb0EEEEEENS2_IJSW_SX_SY_S10_SZ_EEENS2_IJS12_S10_SZ_S13_NS8_IJLi7ELi8EEEEEEENS8_IJLi5ELi6ELi7ELi8EEEElEES1J_EEES1J_NS_31BlockToCTileMap_M00_N0_M01AdaptILi256ELi128ENSI_INS2_IJSO_SQ_SQ_EEENS2_IJSW_SX_SY_EEENS2_IJS12_S10_SZ_EEENS8_IJLi3ELi4EEEElEEiEELb1EEEvPKT0_PKT1_T2_PT3_T4_T5_T6_T7_T8_T9_T10_T11_, .Lfunc_end1-_ZN2ck35kernel_gemm_multiple_d_xdl_cshuffleINS_34GridwiseGemmMultipleD_xdl_cshuffleIfffffNS_5TupleIJffEEEfNS_16tensor_operation12element_wise11PassThroughES6_NS5_14AddAddFastGeluELi1ELi256ELi256ELi128ELi32ELi8ELi8ELi16ELi16ELi8ELi4ENS_8SequenceIJLi4ELi64ELi1EEEENS8_IJLi1ELi0ELi2EEEESA_Li2ELi4ELi4ELb0ELi1ES9_SA_SA_Li2ELi4ELi4ELb0ELi1ELi1ELi1ENS8_IJLi1ELi32ELi1ELi8EEEELi2ELNS_13LoopSchedulerE0ELNS_15PipelineVersionE0EfLb0EEEffNS2_IJPKfSG_EEEfS6_S6_S7_NS_16TensorDescriptorINS2_IJNS_5EmbedINS2_IJiiEEENS2_IJiNS_17integral_constantIiLi1EEEEEELb0EEENS_11PassThroughIiEESQ_NS_7UnMergeINS2_IJiNSL_IiLi8EEEEEELb0EEESQ_EEENS2_IJNS8_IJLi0EEEENS8_IJLi1EEEENS8_IJLi2EEEENS8_IJLi4EEEENS8_IJLi3EEEEEEENS2_IJNS8_IJLi1ELi2EEEES10_SZ_NS8_IJLi5ELi6EEEENS8_IJLi7EEEEEEENS8_IJLi5ELi7ELi6EEEElEES17_NS2_IJNSI_INS2_IJSO_SQ_SQ_NSR_INS2_IJiNSL_IiLi256EEEEEELb0EEENSR_INS2_IJiNSL_IiLi128EEEEEELb0EEEEEENS2_IJSW_SX_SY_S10_SZ_EEENS2_IJS12_S10_SZ_S13_NS8_IJLi7ELi8EEEEEEENS8_IJLi5ELi6ELi7ELi8EEEElEES1J_EEES1J_NS_31BlockToCTileMap_M00_N0_M01AdaptILi256ELi128ENSI_INS2_IJSO_SQ_SQ_EEENS2_IJSW_SX_SY_EEENS2_IJS12_S10_SZ_EEENS8_IJLi3ELi4EEEElEEiEELb1EEEvPKT0_PKT1_T2_PT3_T4_T5_T6_T7_T8_T9_T10_T11_
                                        ; -- End function
	.set _ZN2ck35kernel_gemm_multiple_d_xdl_cshuffleINS_34GridwiseGemmMultipleD_xdl_cshuffleIfffffNS_5TupleIJffEEEfNS_16tensor_operation12element_wise11PassThroughES6_NS5_14AddAddFastGeluELi1ELi256ELi256ELi128ELi32ELi8ELi8ELi16ELi16ELi8ELi4ENS_8SequenceIJLi4ELi64ELi1EEEENS8_IJLi1ELi0ELi2EEEESA_Li2ELi4ELi4ELb0ELi1ES9_SA_SA_Li2ELi4ELi4ELb0ELi1ELi1ELi1ENS8_IJLi1ELi32ELi1ELi8EEEELi2ELNS_13LoopSchedulerE0ELNS_15PipelineVersionE0EfLb0EEEffNS2_IJPKfSG_EEEfS6_S6_S7_NS_16TensorDescriptorINS2_IJNS_5EmbedINS2_IJiiEEENS2_IJiNS_17integral_constantIiLi1EEEEEELb0EEENS_11PassThroughIiEESQ_NS_7UnMergeINS2_IJiNSL_IiLi8EEEEEELb0EEESQ_EEENS2_IJNS8_IJLi0EEEENS8_IJLi1EEEENS8_IJLi2EEEENS8_IJLi4EEEENS8_IJLi3EEEEEEENS2_IJNS8_IJLi1ELi2EEEES10_SZ_NS8_IJLi5ELi6EEEENS8_IJLi7EEEEEEENS8_IJLi5ELi7ELi6EEEElEES17_NS2_IJNSI_INS2_IJSO_SQ_SQ_NSR_INS2_IJiNSL_IiLi256EEEEEELb0EEENSR_INS2_IJiNSL_IiLi128EEEEEELb0EEEEEENS2_IJSW_SX_SY_S10_SZ_EEENS2_IJS12_S10_SZ_S13_NS8_IJLi7ELi8EEEEEEENS8_IJLi5ELi6ELi7ELi8EEEElEES1J_EEES1J_NS_31BlockToCTileMap_M00_N0_M01AdaptILi256ELi128ENSI_INS2_IJSO_SQ_SQ_EEENS2_IJSW_SX_SY_EEENS2_IJS12_S10_SZ_EEENS8_IJLi3ELi4EEEElEEiEELb1EEEvPKT0_PKT1_T2_PT3_T4_T5_T6_T7_T8_T9_T10_T11_.num_vgpr, 256
	.set _ZN2ck35kernel_gemm_multiple_d_xdl_cshuffleINS_34GridwiseGemmMultipleD_xdl_cshuffleIfffffNS_5TupleIJffEEEfNS_16tensor_operation12element_wise11PassThroughES6_NS5_14AddAddFastGeluELi1ELi256ELi256ELi128ELi32ELi8ELi8ELi16ELi16ELi8ELi4ENS_8SequenceIJLi4ELi64ELi1EEEENS8_IJLi1ELi0ELi2EEEESA_Li2ELi4ELi4ELb0ELi1ES9_SA_SA_Li2ELi4ELi4ELb0ELi1ELi1ELi1ENS8_IJLi1ELi32ELi1ELi8EEEELi2ELNS_13LoopSchedulerE0ELNS_15PipelineVersionE0EfLb0EEEffNS2_IJPKfSG_EEEfS6_S6_S7_NS_16TensorDescriptorINS2_IJNS_5EmbedINS2_IJiiEEENS2_IJiNS_17integral_constantIiLi1EEEEEELb0EEENS_11PassThroughIiEESQ_NS_7UnMergeINS2_IJiNSL_IiLi8EEEEEELb0EEESQ_EEENS2_IJNS8_IJLi0EEEENS8_IJLi1EEEENS8_IJLi2EEEENS8_IJLi4EEEENS8_IJLi3EEEEEEENS2_IJNS8_IJLi1ELi2EEEES10_SZ_NS8_IJLi5ELi6EEEENS8_IJLi7EEEEEEENS8_IJLi5ELi7ELi6EEEElEES17_NS2_IJNSI_INS2_IJSO_SQ_SQ_NSR_INS2_IJiNSL_IiLi256EEEEEELb0EEENSR_INS2_IJiNSL_IiLi128EEEEEELb0EEEEEENS2_IJSW_SX_SY_S10_SZ_EEENS2_IJS12_S10_SZ_S13_NS8_IJLi7ELi8EEEEEEENS8_IJLi5ELi6ELi7ELi8EEEElEES1J_EEES1J_NS_31BlockToCTileMap_M00_N0_M01AdaptILi256ELi128ENSI_INS2_IJSO_SQ_SQ_EEENS2_IJSW_SX_SY_EEENS2_IJS12_S10_SZ_EEENS8_IJLi3ELi4EEEElEEiEELb1EEEvPKT0_PKT1_T2_PT3_T4_T5_T6_T7_T8_T9_T10_T11_.num_agpr, 0
	.set _ZN2ck35kernel_gemm_multiple_d_xdl_cshuffleINS_34GridwiseGemmMultipleD_xdl_cshuffleIfffffNS_5TupleIJffEEEfNS_16tensor_operation12element_wise11PassThroughES6_NS5_14AddAddFastGeluELi1ELi256ELi256ELi128ELi32ELi8ELi8ELi16ELi16ELi8ELi4ENS_8SequenceIJLi4ELi64ELi1EEEENS8_IJLi1ELi0ELi2EEEESA_Li2ELi4ELi4ELb0ELi1ES9_SA_SA_Li2ELi4ELi4ELb0ELi1ELi1ELi1ENS8_IJLi1ELi32ELi1ELi8EEEELi2ELNS_13LoopSchedulerE0ELNS_15PipelineVersionE0EfLb0EEEffNS2_IJPKfSG_EEEfS6_S6_S7_NS_16TensorDescriptorINS2_IJNS_5EmbedINS2_IJiiEEENS2_IJiNS_17integral_constantIiLi1EEEEEELb0EEENS_11PassThroughIiEESQ_NS_7UnMergeINS2_IJiNSL_IiLi8EEEEEELb0EEESQ_EEENS2_IJNS8_IJLi0EEEENS8_IJLi1EEEENS8_IJLi2EEEENS8_IJLi4EEEENS8_IJLi3EEEEEEENS2_IJNS8_IJLi1ELi2EEEES10_SZ_NS8_IJLi5ELi6EEEENS8_IJLi7EEEEEEENS8_IJLi5ELi7ELi6EEEElEES17_NS2_IJNSI_INS2_IJSO_SQ_SQ_NSR_INS2_IJiNSL_IiLi256EEEEEELb0EEENSR_INS2_IJiNSL_IiLi128EEEEEELb0EEEEEENS2_IJSW_SX_SY_S10_SZ_EEENS2_IJS12_S10_SZ_S13_NS8_IJLi7ELi8EEEEEEENS8_IJLi5ELi6ELi7ELi8EEEElEES1J_EEES1J_NS_31BlockToCTileMap_M00_N0_M01AdaptILi256ELi128ENSI_INS2_IJSO_SQ_SQ_EEENS2_IJSW_SX_SY_EEENS2_IJS12_S10_SZ_EEENS8_IJLi3ELi4EEEElEEiEELb1EEEvPKT0_PKT1_T2_PT3_T4_T5_T6_T7_T8_T9_T10_T11_.numbered_sgpr, 34
	.set _ZN2ck35kernel_gemm_multiple_d_xdl_cshuffleINS_34GridwiseGemmMultipleD_xdl_cshuffleIfffffNS_5TupleIJffEEEfNS_16tensor_operation12element_wise11PassThroughES6_NS5_14AddAddFastGeluELi1ELi256ELi256ELi128ELi32ELi8ELi8ELi16ELi16ELi8ELi4ENS_8SequenceIJLi4ELi64ELi1EEEENS8_IJLi1ELi0ELi2EEEESA_Li2ELi4ELi4ELb0ELi1ES9_SA_SA_Li2ELi4ELi4ELb0ELi1ELi1ELi1ENS8_IJLi1ELi32ELi1ELi8EEEELi2ELNS_13LoopSchedulerE0ELNS_15PipelineVersionE0EfLb0EEEffNS2_IJPKfSG_EEEfS6_S6_S7_NS_16TensorDescriptorINS2_IJNS_5EmbedINS2_IJiiEEENS2_IJiNS_17integral_constantIiLi1EEEEEELb0EEENS_11PassThroughIiEESQ_NS_7UnMergeINS2_IJiNSL_IiLi8EEEEEELb0EEESQ_EEENS2_IJNS8_IJLi0EEEENS8_IJLi1EEEENS8_IJLi2EEEENS8_IJLi4EEEENS8_IJLi3EEEEEEENS2_IJNS8_IJLi1ELi2EEEES10_SZ_NS8_IJLi5ELi6EEEENS8_IJLi7EEEEEEENS8_IJLi5ELi7ELi6EEEElEES17_NS2_IJNSI_INS2_IJSO_SQ_SQ_NSR_INS2_IJiNSL_IiLi256EEEEEELb0EEENSR_INS2_IJiNSL_IiLi128EEEEEELb0EEEEEENS2_IJSW_SX_SY_S10_SZ_EEENS2_IJS12_S10_SZ_S13_NS8_IJLi7ELi8EEEEEEENS8_IJLi5ELi6ELi7ELi8EEEElEES1J_EEES1J_NS_31BlockToCTileMap_M00_N0_M01AdaptILi256ELi128ENSI_INS2_IJSO_SQ_SQ_EEENS2_IJSW_SX_SY_EEENS2_IJS12_S10_SZ_EEENS8_IJLi3ELi4EEEElEEiEELb1EEEvPKT0_PKT1_T2_PT3_T4_T5_T6_T7_T8_T9_T10_T11_.num_named_barrier, 0
	.set _ZN2ck35kernel_gemm_multiple_d_xdl_cshuffleINS_34GridwiseGemmMultipleD_xdl_cshuffleIfffffNS_5TupleIJffEEEfNS_16tensor_operation12element_wise11PassThroughES6_NS5_14AddAddFastGeluELi1ELi256ELi256ELi128ELi32ELi8ELi8ELi16ELi16ELi8ELi4ENS_8SequenceIJLi4ELi64ELi1EEEENS8_IJLi1ELi0ELi2EEEESA_Li2ELi4ELi4ELb0ELi1ES9_SA_SA_Li2ELi4ELi4ELb0ELi1ELi1ELi1ENS8_IJLi1ELi32ELi1ELi8EEEELi2ELNS_13LoopSchedulerE0ELNS_15PipelineVersionE0EfLb0EEEffNS2_IJPKfSG_EEEfS6_S6_S7_NS_16TensorDescriptorINS2_IJNS_5EmbedINS2_IJiiEEENS2_IJiNS_17integral_constantIiLi1EEEEEELb0EEENS_11PassThroughIiEESQ_NS_7UnMergeINS2_IJiNSL_IiLi8EEEEEELb0EEESQ_EEENS2_IJNS8_IJLi0EEEENS8_IJLi1EEEENS8_IJLi2EEEENS8_IJLi4EEEENS8_IJLi3EEEEEEENS2_IJNS8_IJLi1ELi2EEEES10_SZ_NS8_IJLi5ELi6EEEENS8_IJLi7EEEEEEENS8_IJLi5ELi7ELi6EEEElEES17_NS2_IJNSI_INS2_IJSO_SQ_SQ_NSR_INS2_IJiNSL_IiLi256EEEEEELb0EEENSR_INS2_IJiNSL_IiLi128EEEEEELb0EEEEEENS2_IJSW_SX_SY_S10_SZ_EEENS2_IJS12_S10_SZ_S13_NS8_IJLi7ELi8EEEEEEENS8_IJLi5ELi6ELi7ELi8EEEElEES1J_EEES1J_NS_31BlockToCTileMap_M00_N0_M01AdaptILi256ELi128ENSI_INS2_IJSO_SQ_SQ_EEENS2_IJSW_SX_SY_EEENS2_IJS12_S10_SZ_EEENS8_IJLi3ELi4EEEElEEiEELb1EEEvPKT0_PKT1_T2_PT3_T4_T5_T6_T7_T8_T9_T10_T11_.private_seg_size, 24
	.set _ZN2ck35kernel_gemm_multiple_d_xdl_cshuffleINS_34GridwiseGemmMultipleD_xdl_cshuffleIfffffNS_5TupleIJffEEEfNS_16tensor_operation12element_wise11PassThroughES6_NS5_14AddAddFastGeluELi1ELi256ELi256ELi128ELi32ELi8ELi8ELi16ELi16ELi8ELi4ENS_8SequenceIJLi4ELi64ELi1EEEENS8_IJLi1ELi0ELi2EEEESA_Li2ELi4ELi4ELb0ELi1ES9_SA_SA_Li2ELi4ELi4ELb0ELi1ELi1ELi1ENS8_IJLi1ELi32ELi1ELi8EEEELi2ELNS_13LoopSchedulerE0ELNS_15PipelineVersionE0EfLb0EEEffNS2_IJPKfSG_EEEfS6_S6_S7_NS_16TensorDescriptorINS2_IJNS_5EmbedINS2_IJiiEEENS2_IJiNS_17integral_constantIiLi1EEEEEELb0EEENS_11PassThroughIiEESQ_NS_7UnMergeINS2_IJiNSL_IiLi8EEEEEELb0EEESQ_EEENS2_IJNS8_IJLi0EEEENS8_IJLi1EEEENS8_IJLi2EEEENS8_IJLi4EEEENS8_IJLi3EEEEEEENS2_IJNS8_IJLi1ELi2EEEES10_SZ_NS8_IJLi5ELi6EEEENS8_IJLi7EEEEEEENS8_IJLi5ELi7ELi6EEEElEES17_NS2_IJNSI_INS2_IJSO_SQ_SQ_NSR_INS2_IJiNSL_IiLi256EEEEEELb0EEENSR_INS2_IJiNSL_IiLi128EEEEEELb0EEEEEENS2_IJSW_SX_SY_S10_SZ_EEENS2_IJS12_S10_SZ_S13_NS8_IJLi7ELi8EEEEEEENS8_IJLi5ELi6ELi7ELi8EEEElEES1J_EEES1J_NS_31BlockToCTileMap_M00_N0_M01AdaptILi256ELi128ENSI_INS2_IJSO_SQ_SQ_EEENS2_IJSW_SX_SY_EEENS2_IJS12_S10_SZ_EEENS8_IJLi3ELi4EEEElEEiEELb1EEEvPKT0_PKT1_T2_PT3_T4_T5_T6_T7_T8_T9_T10_T11_.uses_vcc, 1
	.set _ZN2ck35kernel_gemm_multiple_d_xdl_cshuffleINS_34GridwiseGemmMultipleD_xdl_cshuffleIfffffNS_5TupleIJffEEEfNS_16tensor_operation12element_wise11PassThroughES6_NS5_14AddAddFastGeluELi1ELi256ELi256ELi128ELi32ELi8ELi8ELi16ELi16ELi8ELi4ENS_8SequenceIJLi4ELi64ELi1EEEENS8_IJLi1ELi0ELi2EEEESA_Li2ELi4ELi4ELb0ELi1ES9_SA_SA_Li2ELi4ELi4ELb0ELi1ELi1ELi1ENS8_IJLi1ELi32ELi1ELi8EEEELi2ELNS_13LoopSchedulerE0ELNS_15PipelineVersionE0EfLb0EEEffNS2_IJPKfSG_EEEfS6_S6_S7_NS_16TensorDescriptorINS2_IJNS_5EmbedINS2_IJiiEEENS2_IJiNS_17integral_constantIiLi1EEEEEELb0EEENS_11PassThroughIiEESQ_NS_7UnMergeINS2_IJiNSL_IiLi8EEEEEELb0EEESQ_EEENS2_IJNS8_IJLi0EEEENS8_IJLi1EEEENS8_IJLi2EEEENS8_IJLi4EEEENS8_IJLi3EEEEEEENS2_IJNS8_IJLi1ELi2EEEES10_SZ_NS8_IJLi5ELi6EEEENS8_IJLi7EEEEEEENS8_IJLi5ELi7ELi6EEEElEES17_NS2_IJNSI_INS2_IJSO_SQ_SQ_NSR_INS2_IJiNSL_IiLi256EEEEEELb0EEENSR_INS2_IJiNSL_IiLi128EEEEEELb0EEEEEENS2_IJSW_SX_SY_S10_SZ_EEENS2_IJS12_S10_SZ_S13_NS8_IJLi7ELi8EEEEEEENS8_IJLi5ELi6ELi7ELi8EEEElEES1J_EEES1J_NS_31BlockToCTileMap_M00_N0_M01AdaptILi256ELi128ENSI_INS2_IJSO_SQ_SQ_EEENS2_IJSW_SX_SY_EEENS2_IJS12_S10_SZ_EEENS8_IJLi3ELi4EEEElEEiEELb1EEEvPKT0_PKT1_T2_PT3_T4_T5_T6_T7_T8_T9_T10_T11_.uses_flat_scratch, 0
	.set _ZN2ck35kernel_gemm_multiple_d_xdl_cshuffleINS_34GridwiseGemmMultipleD_xdl_cshuffleIfffffNS_5TupleIJffEEEfNS_16tensor_operation12element_wise11PassThroughES6_NS5_14AddAddFastGeluELi1ELi256ELi256ELi128ELi32ELi8ELi8ELi16ELi16ELi8ELi4ENS_8SequenceIJLi4ELi64ELi1EEEENS8_IJLi1ELi0ELi2EEEESA_Li2ELi4ELi4ELb0ELi1ES9_SA_SA_Li2ELi4ELi4ELb0ELi1ELi1ELi1ENS8_IJLi1ELi32ELi1ELi8EEEELi2ELNS_13LoopSchedulerE0ELNS_15PipelineVersionE0EfLb0EEEffNS2_IJPKfSG_EEEfS6_S6_S7_NS_16TensorDescriptorINS2_IJNS_5EmbedINS2_IJiiEEENS2_IJiNS_17integral_constantIiLi1EEEEEELb0EEENS_11PassThroughIiEESQ_NS_7UnMergeINS2_IJiNSL_IiLi8EEEEEELb0EEESQ_EEENS2_IJNS8_IJLi0EEEENS8_IJLi1EEEENS8_IJLi2EEEENS8_IJLi4EEEENS8_IJLi3EEEEEEENS2_IJNS8_IJLi1ELi2EEEES10_SZ_NS8_IJLi5ELi6EEEENS8_IJLi7EEEEEEENS8_IJLi5ELi7ELi6EEEElEES17_NS2_IJNSI_INS2_IJSO_SQ_SQ_NSR_INS2_IJiNSL_IiLi256EEEEEELb0EEENSR_INS2_IJiNSL_IiLi128EEEEEELb0EEEEEENS2_IJSW_SX_SY_S10_SZ_EEENS2_IJS12_S10_SZ_S13_NS8_IJLi7ELi8EEEEEEENS8_IJLi5ELi6ELi7ELi8EEEElEES1J_EEES1J_NS_31BlockToCTileMap_M00_N0_M01AdaptILi256ELi128ENSI_INS2_IJSO_SQ_SQ_EEENS2_IJSW_SX_SY_EEENS2_IJS12_S10_SZ_EEENS8_IJLi3ELi4EEEElEEiEELb1EEEvPKT0_PKT1_T2_PT3_T4_T5_T6_T7_T8_T9_T10_T11_.has_dyn_sized_stack, 0
	.set _ZN2ck35kernel_gemm_multiple_d_xdl_cshuffleINS_34GridwiseGemmMultipleD_xdl_cshuffleIfffffNS_5TupleIJffEEEfNS_16tensor_operation12element_wise11PassThroughES6_NS5_14AddAddFastGeluELi1ELi256ELi256ELi128ELi32ELi8ELi8ELi16ELi16ELi8ELi4ENS_8SequenceIJLi4ELi64ELi1EEEENS8_IJLi1ELi0ELi2EEEESA_Li2ELi4ELi4ELb0ELi1ES9_SA_SA_Li2ELi4ELi4ELb0ELi1ELi1ELi1ENS8_IJLi1ELi32ELi1ELi8EEEELi2ELNS_13LoopSchedulerE0ELNS_15PipelineVersionE0EfLb0EEEffNS2_IJPKfSG_EEEfS6_S6_S7_NS_16TensorDescriptorINS2_IJNS_5EmbedINS2_IJiiEEENS2_IJiNS_17integral_constantIiLi1EEEEEELb0EEENS_11PassThroughIiEESQ_NS_7UnMergeINS2_IJiNSL_IiLi8EEEEEELb0EEESQ_EEENS2_IJNS8_IJLi0EEEENS8_IJLi1EEEENS8_IJLi2EEEENS8_IJLi4EEEENS8_IJLi3EEEEEEENS2_IJNS8_IJLi1ELi2EEEES10_SZ_NS8_IJLi5ELi6EEEENS8_IJLi7EEEEEEENS8_IJLi5ELi7ELi6EEEElEES17_NS2_IJNSI_INS2_IJSO_SQ_SQ_NSR_INS2_IJiNSL_IiLi256EEEEEELb0EEENSR_INS2_IJiNSL_IiLi128EEEEEELb0EEEEEENS2_IJSW_SX_SY_S10_SZ_EEENS2_IJS12_S10_SZ_S13_NS8_IJLi7ELi8EEEEEEENS8_IJLi5ELi6ELi7ELi8EEEElEES1J_EEES1J_NS_31BlockToCTileMap_M00_N0_M01AdaptILi256ELi128ENSI_INS2_IJSO_SQ_SQ_EEENS2_IJSW_SX_SY_EEENS2_IJS12_S10_SZ_EEENS8_IJLi3ELi4EEEElEEiEELb1EEEvPKT0_PKT1_T2_PT3_T4_T5_T6_T7_T8_T9_T10_T11_.has_recursion, 0
	.set _ZN2ck35kernel_gemm_multiple_d_xdl_cshuffleINS_34GridwiseGemmMultipleD_xdl_cshuffleIfffffNS_5TupleIJffEEEfNS_16tensor_operation12element_wise11PassThroughES6_NS5_14AddAddFastGeluELi1ELi256ELi256ELi128ELi32ELi8ELi8ELi16ELi16ELi8ELi4ENS_8SequenceIJLi4ELi64ELi1EEEENS8_IJLi1ELi0ELi2EEEESA_Li2ELi4ELi4ELb0ELi1ES9_SA_SA_Li2ELi4ELi4ELb0ELi1ELi1ELi1ENS8_IJLi1ELi32ELi1ELi8EEEELi2ELNS_13LoopSchedulerE0ELNS_15PipelineVersionE0EfLb0EEEffNS2_IJPKfSG_EEEfS6_S6_S7_NS_16TensorDescriptorINS2_IJNS_5EmbedINS2_IJiiEEENS2_IJiNS_17integral_constantIiLi1EEEEEELb0EEENS_11PassThroughIiEESQ_NS_7UnMergeINS2_IJiNSL_IiLi8EEEEEELb0EEESQ_EEENS2_IJNS8_IJLi0EEEENS8_IJLi1EEEENS8_IJLi2EEEENS8_IJLi4EEEENS8_IJLi3EEEEEEENS2_IJNS8_IJLi1ELi2EEEES10_SZ_NS8_IJLi5ELi6EEEENS8_IJLi7EEEEEEENS8_IJLi5ELi7ELi6EEEElEES17_NS2_IJNSI_INS2_IJSO_SQ_SQ_NSR_INS2_IJiNSL_IiLi256EEEEEELb0EEENSR_INS2_IJiNSL_IiLi128EEEEEELb0EEEEEENS2_IJSW_SX_SY_S10_SZ_EEENS2_IJS12_S10_SZ_S13_NS8_IJLi7ELi8EEEEEEENS8_IJLi5ELi6ELi7ELi8EEEElEES1J_EEES1J_NS_31BlockToCTileMap_M00_N0_M01AdaptILi256ELi128ENSI_INS2_IJSO_SQ_SQ_EEENS2_IJSW_SX_SY_EEENS2_IJS12_S10_SZ_EEENS8_IJLi3ELi4EEEElEEiEELb1EEEvPKT0_PKT1_T2_PT3_T4_T5_T6_T7_T8_T9_T10_T11_.has_indirect_call, 0
	.section	.AMDGPU.csdata,"",@progbits
; Kernel info:
; codeLenInByte = 28496
; TotalNumSgprs: 40
; NumVgprs: 256
; NumAgprs: 0
; TotalNumVgprs: 256
; ScratchSize: 24
; MemoryBound: 0
; FloatMode: 240
; IeeeMode: 1
; LDSByteSize: 49344 bytes/workgroup (compile time only)
; SGPRBlocks: 12
; VGPRBlocks: 31
; NumSGPRsForWavesPerEU: 102
; NumVGPRsForWavesPerEU: 256
; AccumOffset: 256
; Occupancy: 2
; WaveLimiterHint : 0
; COMPUTE_PGM_RSRC2:SCRATCH_EN: 1
; COMPUTE_PGM_RSRC2:USER_SGPR: 2
; COMPUTE_PGM_RSRC2:TRAP_HANDLER: 0
; COMPUTE_PGM_RSRC2:TGID_X_EN: 1
; COMPUTE_PGM_RSRC2:TGID_Y_EN: 0
; COMPUTE_PGM_RSRC2:TGID_Z_EN: 0
; COMPUTE_PGM_RSRC2:TIDIG_COMP_CNT: 0
; COMPUTE_PGM_RSRC3_GFX90A:ACCUM_OFFSET: 63
; COMPUTE_PGM_RSRC3_GFX90A:TG_SPLIT: 0
	.section	.text._ZN2ck35kernel_gemm_multiple_d_xdl_cshuffleINS_34GridwiseGemmMultipleD_xdl_cshuffleIfffffNS_5TupleIJffEEEfNS_16tensor_operation12element_wise11PassThroughES6_NS5_14AddAddFastGeluELi1ELi256ELi256ELi128ELi32ELi8ELi8ELi16ELi16ELi8ELi4ENS_8SequenceIJLi4ELi64ELi1EEEENS8_IJLi1ELi0ELi2EEEESA_Li2ELi4ELi4ELb0ELi1ES9_SA_SA_Li2ELi4ELi4ELb0ELi1ELi1ELi1ENS8_IJLi1ELi32ELi1ELi8EEEELi2ELNS_13LoopSchedulerE0ELNS_15PipelineVersionE0EfLb0EEEffNS2_IJPKfSG_EEEfS6_S6_S7_NS_16TensorDescriptorINS2_IJNS_5EmbedINS2_IJiiEEENS2_IJiNS_17integral_constantIiLi1EEEEEELb0EEENS_11PassThroughIiEESQ_NS_7UnMergeINS2_IJiNSL_IiLi8EEEEEELb0EEESQ_EEENS2_IJNS8_IJLi0EEEENS8_IJLi1EEEENS8_IJLi2EEEENS8_IJLi4EEEENS8_IJLi3EEEEEEENS2_IJNS8_IJLi1ELi2EEEES10_SZ_NS8_IJLi5ELi6EEEENS8_IJLi7EEEEEEENS8_IJLi5ELi7ELi6EEEElEES17_NS2_IJNSI_INS2_IJSO_SQ_SQ_NSR_INS2_IJiNSL_IiLi256EEEEEELb0EEENSR_INS2_IJiNSL_IiLi128EEEEEELb0EEEEEENS2_IJSW_SX_SY_S10_SZ_EEENS2_IJS12_S10_SZ_S13_NS8_IJLi7ELi8EEEEEEENS8_IJLi5ELi6ELi7ELi8EEEElEES1J_EEES1J_NS_31BlockToCTileMap_M00_N0_M01AdaptILi256ELi128ENSI_INS2_IJSO_SQ_SQ_EEENS2_IJSW_SX_SY_EEENS2_IJS12_S10_SZ_EEENS8_IJLi3ELi4EEEElEEiEELb0EEEvPKT0_PKT1_T2_PT3_T4_T5_T6_T7_T8_T9_T10_T11_,"axG",@progbits,_ZN2ck35kernel_gemm_multiple_d_xdl_cshuffleINS_34GridwiseGemmMultipleD_xdl_cshuffleIfffffNS_5TupleIJffEEEfNS_16tensor_operation12element_wise11PassThroughES6_NS5_14AddAddFastGeluELi1ELi256ELi256ELi128ELi32ELi8ELi8ELi16ELi16ELi8ELi4ENS_8SequenceIJLi4ELi64ELi1EEEENS8_IJLi1ELi0ELi2EEEESA_Li2ELi4ELi4ELb0ELi1ES9_SA_SA_Li2ELi4ELi4ELb0ELi1ELi1ELi1ENS8_IJLi1ELi32ELi1ELi8EEEELi2ELNS_13LoopSchedulerE0ELNS_15PipelineVersionE0EfLb0EEEffNS2_IJPKfSG_EEEfS6_S6_S7_NS_16TensorDescriptorINS2_IJNS_5EmbedINS2_IJiiEEENS2_IJiNS_17integral_constantIiLi1EEEEEELb0EEENS_11PassThroughIiEESQ_NS_7UnMergeINS2_IJiNSL_IiLi8EEEEEELb0EEESQ_EEENS2_IJNS8_IJLi0EEEENS8_IJLi1EEEENS8_IJLi2EEEENS8_IJLi4EEEENS8_IJLi3EEEEEEENS2_IJNS8_IJLi1ELi2EEEES10_SZ_NS8_IJLi5ELi6EEEENS8_IJLi7EEEEEEENS8_IJLi5ELi7ELi6EEEElEES17_NS2_IJNSI_INS2_IJSO_SQ_SQ_NSR_INS2_IJiNSL_IiLi256EEEEEELb0EEENSR_INS2_IJiNSL_IiLi128EEEEEELb0EEEEEENS2_IJSW_SX_SY_S10_SZ_EEENS2_IJS12_S10_SZ_S13_NS8_IJLi7ELi8EEEEEEENS8_IJLi5ELi6ELi7ELi8EEEElEES1J_EEES1J_NS_31BlockToCTileMap_M00_N0_M01AdaptILi256ELi128ENSI_INS2_IJSO_SQ_SQ_EEENS2_IJSW_SX_SY_EEENS2_IJS12_S10_SZ_EEENS8_IJLi3ELi4EEEElEEiEELb0EEEvPKT0_PKT1_T2_PT3_T4_T5_T6_T7_T8_T9_T10_T11_,comdat
	.protected	_ZN2ck35kernel_gemm_multiple_d_xdl_cshuffleINS_34GridwiseGemmMultipleD_xdl_cshuffleIfffffNS_5TupleIJffEEEfNS_16tensor_operation12element_wise11PassThroughES6_NS5_14AddAddFastGeluELi1ELi256ELi256ELi128ELi32ELi8ELi8ELi16ELi16ELi8ELi4ENS_8SequenceIJLi4ELi64ELi1EEEENS8_IJLi1ELi0ELi2EEEESA_Li2ELi4ELi4ELb0ELi1ES9_SA_SA_Li2ELi4ELi4ELb0ELi1ELi1ELi1ENS8_IJLi1ELi32ELi1ELi8EEEELi2ELNS_13LoopSchedulerE0ELNS_15PipelineVersionE0EfLb0EEEffNS2_IJPKfSG_EEEfS6_S6_S7_NS_16TensorDescriptorINS2_IJNS_5EmbedINS2_IJiiEEENS2_IJiNS_17integral_constantIiLi1EEEEEELb0EEENS_11PassThroughIiEESQ_NS_7UnMergeINS2_IJiNSL_IiLi8EEEEEELb0EEESQ_EEENS2_IJNS8_IJLi0EEEENS8_IJLi1EEEENS8_IJLi2EEEENS8_IJLi4EEEENS8_IJLi3EEEEEEENS2_IJNS8_IJLi1ELi2EEEES10_SZ_NS8_IJLi5ELi6EEEENS8_IJLi7EEEEEEENS8_IJLi5ELi7ELi6EEEElEES17_NS2_IJNSI_INS2_IJSO_SQ_SQ_NSR_INS2_IJiNSL_IiLi256EEEEEELb0EEENSR_INS2_IJiNSL_IiLi128EEEEEELb0EEEEEENS2_IJSW_SX_SY_S10_SZ_EEENS2_IJS12_S10_SZ_S13_NS8_IJLi7ELi8EEEEEEENS8_IJLi5ELi6ELi7ELi8EEEElEES1J_EEES1J_NS_31BlockToCTileMap_M00_N0_M01AdaptILi256ELi128ENSI_INS2_IJSO_SQ_SQ_EEENS2_IJSW_SX_SY_EEENS2_IJS12_S10_SZ_EEENS8_IJLi3ELi4EEEElEEiEELb0EEEvPKT0_PKT1_T2_PT3_T4_T5_T6_T7_T8_T9_T10_T11_ ; -- Begin function _ZN2ck35kernel_gemm_multiple_d_xdl_cshuffleINS_34GridwiseGemmMultipleD_xdl_cshuffleIfffffNS_5TupleIJffEEEfNS_16tensor_operation12element_wise11PassThroughES6_NS5_14AddAddFastGeluELi1ELi256ELi256ELi128ELi32ELi8ELi8ELi16ELi16ELi8ELi4ENS_8SequenceIJLi4ELi64ELi1EEEENS8_IJLi1ELi0ELi2EEEESA_Li2ELi4ELi4ELb0ELi1ES9_SA_SA_Li2ELi4ELi4ELb0ELi1ELi1ELi1ENS8_IJLi1ELi32ELi1ELi8EEEELi2ELNS_13LoopSchedulerE0ELNS_15PipelineVersionE0EfLb0EEEffNS2_IJPKfSG_EEEfS6_S6_S7_NS_16TensorDescriptorINS2_IJNS_5EmbedINS2_IJiiEEENS2_IJiNS_17integral_constantIiLi1EEEEEELb0EEENS_11PassThroughIiEESQ_NS_7UnMergeINS2_IJiNSL_IiLi8EEEEEELb0EEESQ_EEENS2_IJNS8_IJLi0EEEENS8_IJLi1EEEENS8_IJLi2EEEENS8_IJLi4EEEENS8_IJLi3EEEEEEENS2_IJNS8_IJLi1ELi2EEEES10_SZ_NS8_IJLi5ELi6EEEENS8_IJLi7EEEEEEENS8_IJLi5ELi7ELi6EEEElEES17_NS2_IJNSI_INS2_IJSO_SQ_SQ_NSR_INS2_IJiNSL_IiLi256EEEEEELb0EEENSR_INS2_IJiNSL_IiLi128EEEEEELb0EEEEEENS2_IJSW_SX_SY_S10_SZ_EEENS2_IJS12_S10_SZ_S13_NS8_IJLi7ELi8EEEEEEENS8_IJLi5ELi6ELi7ELi8EEEElEES1J_EEES1J_NS_31BlockToCTileMap_M00_N0_M01AdaptILi256ELi128ENSI_INS2_IJSO_SQ_SQ_EEENS2_IJSW_SX_SY_EEENS2_IJS12_S10_SZ_EEENS8_IJLi3ELi4EEEElEEiEELb0EEEvPKT0_PKT1_T2_PT3_T4_T5_T6_T7_T8_T9_T10_T11_
	.globl	_ZN2ck35kernel_gemm_multiple_d_xdl_cshuffleINS_34GridwiseGemmMultipleD_xdl_cshuffleIfffffNS_5TupleIJffEEEfNS_16tensor_operation12element_wise11PassThroughES6_NS5_14AddAddFastGeluELi1ELi256ELi256ELi128ELi32ELi8ELi8ELi16ELi16ELi8ELi4ENS_8SequenceIJLi4ELi64ELi1EEEENS8_IJLi1ELi0ELi2EEEESA_Li2ELi4ELi4ELb0ELi1ES9_SA_SA_Li2ELi4ELi4ELb0ELi1ELi1ELi1ENS8_IJLi1ELi32ELi1ELi8EEEELi2ELNS_13LoopSchedulerE0ELNS_15PipelineVersionE0EfLb0EEEffNS2_IJPKfSG_EEEfS6_S6_S7_NS_16TensorDescriptorINS2_IJNS_5EmbedINS2_IJiiEEENS2_IJiNS_17integral_constantIiLi1EEEEEELb0EEENS_11PassThroughIiEESQ_NS_7UnMergeINS2_IJiNSL_IiLi8EEEEEELb0EEESQ_EEENS2_IJNS8_IJLi0EEEENS8_IJLi1EEEENS8_IJLi2EEEENS8_IJLi4EEEENS8_IJLi3EEEEEEENS2_IJNS8_IJLi1ELi2EEEES10_SZ_NS8_IJLi5ELi6EEEENS8_IJLi7EEEEEEENS8_IJLi5ELi7ELi6EEEElEES17_NS2_IJNSI_INS2_IJSO_SQ_SQ_NSR_INS2_IJiNSL_IiLi256EEEEEELb0EEENSR_INS2_IJiNSL_IiLi128EEEEEELb0EEEEEENS2_IJSW_SX_SY_S10_SZ_EEENS2_IJS12_S10_SZ_S13_NS8_IJLi7ELi8EEEEEEENS8_IJLi5ELi6ELi7ELi8EEEElEES1J_EEES1J_NS_31BlockToCTileMap_M00_N0_M01AdaptILi256ELi128ENSI_INS2_IJSO_SQ_SQ_EEENS2_IJSW_SX_SY_EEENS2_IJS12_S10_SZ_EEENS8_IJLi3ELi4EEEElEEiEELb0EEEvPKT0_PKT1_T2_PT3_T4_T5_T6_T7_T8_T9_T10_T11_
	.p2align	8
	.type	_ZN2ck35kernel_gemm_multiple_d_xdl_cshuffleINS_34GridwiseGemmMultipleD_xdl_cshuffleIfffffNS_5TupleIJffEEEfNS_16tensor_operation12element_wise11PassThroughES6_NS5_14AddAddFastGeluELi1ELi256ELi256ELi128ELi32ELi8ELi8ELi16ELi16ELi8ELi4ENS_8SequenceIJLi4ELi64ELi1EEEENS8_IJLi1ELi0ELi2EEEESA_Li2ELi4ELi4ELb0ELi1ES9_SA_SA_Li2ELi4ELi4ELb0ELi1ELi1ELi1ENS8_IJLi1ELi32ELi1ELi8EEEELi2ELNS_13LoopSchedulerE0ELNS_15PipelineVersionE0EfLb0EEEffNS2_IJPKfSG_EEEfS6_S6_S7_NS_16TensorDescriptorINS2_IJNS_5EmbedINS2_IJiiEEENS2_IJiNS_17integral_constantIiLi1EEEEEELb0EEENS_11PassThroughIiEESQ_NS_7UnMergeINS2_IJiNSL_IiLi8EEEEEELb0EEESQ_EEENS2_IJNS8_IJLi0EEEENS8_IJLi1EEEENS8_IJLi2EEEENS8_IJLi4EEEENS8_IJLi3EEEEEEENS2_IJNS8_IJLi1ELi2EEEES10_SZ_NS8_IJLi5ELi6EEEENS8_IJLi7EEEEEEENS8_IJLi5ELi7ELi6EEEElEES17_NS2_IJNSI_INS2_IJSO_SQ_SQ_NSR_INS2_IJiNSL_IiLi256EEEEEELb0EEENSR_INS2_IJiNSL_IiLi128EEEEEELb0EEEEEENS2_IJSW_SX_SY_S10_SZ_EEENS2_IJS12_S10_SZ_S13_NS8_IJLi7ELi8EEEEEEENS8_IJLi5ELi6ELi7ELi8EEEElEES1J_EEES1J_NS_31BlockToCTileMap_M00_N0_M01AdaptILi256ELi128ENSI_INS2_IJSO_SQ_SQ_EEENS2_IJSW_SX_SY_EEENS2_IJS12_S10_SZ_EEENS8_IJLi3ELi4EEEElEEiEELb0EEEvPKT0_PKT1_T2_PT3_T4_T5_T6_T7_T8_T9_T10_T11_,@function
_ZN2ck35kernel_gemm_multiple_d_xdl_cshuffleINS_34GridwiseGemmMultipleD_xdl_cshuffleIfffffNS_5TupleIJffEEEfNS_16tensor_operation12element_wise11PassThroughES6_NS5_14AddAddFastGeluELi1ELi256ELi256ELi128ELi32ELi8ELi8ELi16ELi16ELi8ELi4ENS_8SequenceIJLi4ELi64ELi1EEEENS8_IJLi1ELi0ELi2EEEESA_Li2ELi4ELi4ELb0ELi1ES9_SA_SA_Li2ELi4ELi4ELb0ELi1ELi1ELi1ENS8_IJLi1ELi32ELi1ELi8EEEELi2ELNS_13LoopSchedulerE0ELNS_15PipelineVersionE0EfLb0EEEffNS2_IJPKfSG_EEEfS6_S6_S7_NS_16TensorDescriptorINS2_IJNS_5EmbedINS2_IJiiEEENS2_IJiNS_17integral_constantIiLi1EEEEEELb0EEENS_11PassThroughIiEESQ_NS_7UnMergeINS2_IJiNSL_IiLi8EEEEEELb0EEESQ_EEENS2_IJNS8_IJLi0EEEENS8_IJLi1EEEENS8_IJLi2EEEENS8_IJLi4EEEENS8_IJLi3EEEEEEENS2_IJNS8_IJLi1ELi2EEEES10_SZ_NS8_IJLi5ELi6EEEENS8_IJLi7EEEEEEENS8_IJLi5ELi7ELi6EEEElEES17_NS2_IJNSI_INS2_IJSO_SQ_SQ_NSR_INS2_IJiNSL_IiLi256EEEEEELb0EEENSR_INS2_IJiNSL_IiLi128EEEEEELb0EEEEEENS2_IJSW_SX_SY_S10_SZ_EEENS2_IJS12_S10_SZ_S13_NS8_IJLi7ELi8EEEEEEENS8_IJLi5ELi6ELi7ELi8EEEElEES1J_EEES1J_NS_31BlockToCTileMap_M00_N0_M01AdaptILi256ELi128ENSI_INS2_IJSO_SQ_SQ_EEENS2_IJSW_SX_SY_EEENS2_IJS12_S10_SZ_EEENS8_IJLi3ELi4EEEElEEiEELb0EEEvPKT0_PKT1_T2_PT3_T4_T5_T6_T7_T8_T9_T10_T11_: ; @_ZN2ck35kernel_gemm_multiple_d_xdl_cshuffleINS_34GridwiseGemmMultipleD_xdl_cshuffleIfffffNS_5TupleIJffEEEfNS_16tensor_operation12element_wise11PassThroughES6_NS5_14AddAddFastGeluELi1ELi256ELi256ELi128ELi32ELi8ELi8ELi16ELi16ELi8ELi4ENS_8SequenceIJLi4ELi64ELi1EEEENS8_IJLi1ELi0ELi2EEEESA_Li2ELi4ELi4ELb0ELi1ES9_SA_SA_Li2ELi4ELi4ELb0ELi1ELi1ELi1ENS8_IJLi1ELi32ELi1ELi8EEEELi2ELNS_13LoopSchedulerE0ELNS_15PipelineVersionE0EfLb0EEEffNS2_IJPKfSG_EEEfS6_S6_S7_NS_16TensorDescriptorINS2_IJNS_5EmbedINS2_IJiiEEENS2_IJiNS_17integral_constantIiLi1EEEEEELb0EEENS_11PassThroughIiEESQ_NS_7UnMergeINS2_IJiNSL_IiLi8EEEEEELb0EEESQ_EEENS2_IJNS8_IJLi0EEEENS8_IJLi1EEEENS8_IJLi2EEEENS8_IJLi4EEEENS8_IJLi3EEEEEEENS2_IJNS8_IJLi1ELi2EEEES10_SZ_NS8_IJLi5ELi6EEEENS8_IJLi7EEEEEEENS8_IJLi5ELi7ELi6EEEElEES17_NS2_IJNSI_INS2_IJSO_SQ_SQ_NSR_INS2_IJiNSL_IiLi256EEEEEELb0EEENSR_INS2_IJiNSL_IiLi128EEEEEELb0EEEEEENS2_IJSW_SX_SY_S10_SZ_EEENS2_IJS12_S10_SZ_S13_NS8_IJLi7ELi8EEEEEEENS8_IJLi5ELi6ELi7ELi8EEEElEES1J_EEES1J_NS_31BlockToCTileMap_M00_N0_M01AdaptILi256ELi128ENSI_INS2_IJSO_SQ_SQ_EEENS2_IJSW_SX_SY_EEENS2_IJS12_S10_SZ_EEENS8_IJLi3ELi4EEEElEEiEELb0EEEvPKT0_PKT1_T2_PT3_T4_T5_T6_T7_T8_T9_T10_T11_
; %bb.0:
	s_load_dwordx2 s[4:5], s[0:1], 0x160
	s_load_dword s14, s[0:1], 0x168
	v_and_b32_e32 v50, 3, v0
	v_lshlrev_b32_e32 v2, 3, v50
	v_and_b32_e32 v76, 15, v0
	s_waitcnt lgkmcnt(0)
	s_addk_i32 s4, 0xff
	s_add_i32 s3, s5, 0x7f
	s_ashr_i32 s5, s4, 31
	s_ashr_i32 s6, s3, 31
	s_lshr_b32 s5, s5, 24
	s_add_i32 s12, s4, s5
	s_lshr_b32 s4, s6, 25
	s_add_i32 s3, s3, s4
	s_ashr_i32 s13, s12, 8
	s_ashr_i32 s3, s3, 7
	s_mul_i32 s4, s3, s13
	s_abs_i32 s4, s4
	v_cvt_f32_u32_e32 v1, s4
	s_sub_i32 s6, 0, s4
	s_ashr_i32 s5, s2, 31
	s_abs_i32 s2, s2
	v_rcp_iflag_f32_e32 v1, v1
	v_mul_u32_u24_e32 v54, 0x1020, v50
	v_lshlrev_b32_e32 v55, 5, v76
	v_lshlrev_b32_e32 v76, 2, v76
	v_mul_f32_e32 v1, 0x4f7ffffe, v1
	v_cvt_u32_f32_e32 v1, v1
	s_nop 0
	v_readfirstlane_b32 s7, v1
	s_mul_i32 s6, s6, s7
	s_mul_hi_u32 s6, s7, s6
	s_add_i32 s7, s7, s6
	s_mul_hi_u32 s6, s2, s7
	s_mul_i32 s6, s6, s4
	s_sub_i32 s2, s2, s6
	s_sub_i32 s6, s2, s4
	s_cmp_ge_u32 s2, s4
	s_cselect_b32 s2, s6, s2
	s_sub_i32 s6, s2, s4
	s_cmp_ge_u32 s2, s4
	s_cselect_b32 s2, s6, s2
	s_abs_i32 s4, s3
	v_cvt_f32_u32_e32 v1, s4
	s_xor_b32 s2, s2, s5
	s_sub_i32 s2, s2, s5
	s_xor_b32 s5, s2, s3
	v_rcp_iflag_f32_e32 v1, v1
	s_sub_i32 s6, 0, s4
	s_ashr_i32 s15, s5, 31
	s_abs_i32 s7, s2
	v_mul_f32_e32 v1, 0x4f7ffffe, v1
	v_cvt_u32_f32_e32 v1, v1
	s_nop 0
	v_readfirstlane_b32 s5, v1
	s_mul_i32 s6, s6, s5
	s_mul_hi_u32 s6, s5, s6
	s_add_i32 s5, s5, s6
	s_mul_hi_u32 s5, s7, s5
	s_mul_i32 s6, s5, s4
	s_sub_i32 s6, s7, s6
	s_add_i32 s8, s5, 1
	s_sub_i32 s7, s6, s4
	s_cmp_ge_u32 s6, s4
	s_cselect_b32 s5, s8, s5
	s_cselect_b32 s6, s7, s6
	s_add_i32 s7, s5, 1
	s_cmp_ge_u32 s6, s4
	s_cselect_b32 s16, s7, s5
	s_abs_i32 s17, s14
	v_cvt_f32_u32_e32 v1, s17
	s_sub_i32 s19, 0, s17
	s_abs_i32 s18, s13
	s_xor_b32 s16, s16, s15
	v_rcp_iflag_f32_e32 v1, v1
	s_ashr_i32 s12, s12, 31
	s_sub_i32 s15, s16, s15
	s_mul_i32 s16, s15, s3
	v_mul_f32_e32 v1, 0x4f7ffffe, v1
	v_cvt_u32_f32_e32 v1, v1
	s_load_dwordx8 s[4:11], s[0:1], 0x0
	v_readfirstlane_b32 s20, v1
	s_mul_i32 s19, s19, s20
	s_mul_hi_u32 s19, s20, s19
	s_add_i32 s20, s20, s19
	s_mul_hi_u32 s19, s18, s20
	s_mul_i32 s19, s19, s17
	s_sub_i32 s18, s18, s19
	s_sub_i32 s19, s18, s17
	s_cmp_ge_u32 s18, s17
	s_cselect_b32 s18, s19, s18
	s_sub_i32 s19, s18, s17
	s_cmp_ge_u32 s18, s17
	s_cselect_b32 s18, s19, s18
	s_xor_b32 s18, s18, s12
	s_sub_i32 s12, s18, s12
	s_sub_i32 s13, s13, s12
	s_cmp_lt_i32 s15, s13
	s_cselect_b32 s12, s14, s12
	s_sub_i32 s13, s2, s16
	s_abs_i32 s2, s15
	s_mul_hi_u32 s16, s2, s20
	s_mul_i32 s16, s16, s17
	s_sub_i32 s2, s2, s16
	s_ashr_i32 s14, s15, 31
	s_sub_i32 s16, s2, s17
	s_cmp_ge_u32 s2, s17
	s_cselect_b32 s2, s16, s2
	s_sub_i32 s16, s2, s17
	s_cmp_ge_u32 s2, s17
	s_cselect_b32 s18, s16, s2
	s_abs_i32 s19, s12
	v_cvt_f32_u32_e32 v1, s19
	s_xor_b32 s18, s18, s14
	s_sub_i32 s14, s18, s14
	s_sub_i32 s24, 0, s19
	v_rcp_iflag_f32_e32 v1, v1
	s_mul_i32 s3, s14, s3
	s_add_i32 s13, s3, s13
	s_abs_i32 s18, s13
	v_mul_f32_e32 v1, 0x4f7ffffe, v1
	v_cvt_u32_f32_e32 v1, v1
	s_xor_b32 s3, s13, s12
	s_ashr_i32 s3, s3, 31
	s_load_dword s20, s[0:1], 0x38
	s_load_dword s21, s[0:1], 0x60
	;; [unrolled: 1-line block ×7, first 2 shown]
	v_readfirstlane_b32 s25, v1
	s_mul_i32 s24, s24, s25
	s_mul_hi_u32 s24, s25, s24
	s_add_i32 s25, s25, s24
	s_mul_hi_u32 s24, s18, s25
	s_mul_i32 s25, s24, s19
	s_sub_i32 s18, s18, s25
	s_add_i32 s25, s24, 1
	s_sub_i32 s26, s18, s19
	s_cmp_ge_u32 s18, s19
	s_cselect_b32 s24, s25, s24
	s_cselect_b32 s18, s26, s18
	s_add_i32 s25, s24, 1
	s_cmp_ge_u32 s18, s19
	s_cselect_b32 s18, s25, s24
	s_xor_b32 s18, s18, s3
	s_sub_i32 s3, s18, s3
	s_mul_i32 s12, s3, s12
	s_sub_i32 s12, s13, s12
	s_sub_i32 s18, s15, s14
	s_add_i32 s18, s18, s12
	v_and_b32_e32 v1, 0xfc, v0
	v_lshl_or_b32 v3, s18, 8, v1
	s_waitcnt lgkmcnt(0)
	v_mad_u64_u32 v[10:11], s[12:13], v3, s20, v[2:3]
	v_lshrrev_b32_e32 v3, 1, v0
	v_and_b32_e32 v51, 0x7e, v3
	v_add_u32_e32 v19, s20, v10
	v_lshl_or_b32 v3, s3, 7, v51
	v_add_u32_e32 v26, s20, v19
	v_mad_u64_u32 v[42:43], s[12:13], v3, s22, v[2:3]
	v_add_u32_e32 v12, 4, v10
	v_add_u32_e32 v28, 4, v26
	s_lshl_b32 s14, s21, 2
	s_and_b32 s13, s5, 0xffff
	s_mov_b32 s15, 0x20000
	s_mov_b32 s12, s4
	v_lshlrev_b32_e32 v11, 2, v10
	v_lshlrev_b32_e32 v13, 2, v12
	v_add_lshl_u32 v18, v12, s20, 2
	v_lshlrev_b32_e32 v20, 2, v19
	v_lshlrev_b32_e32 v27, 2, v26
	;; [unrolled: 1-line block ×3, first 2 shown]
	v_add_lshl_u32 v34, v28, s20, 2
	v_add_u32_e32 v44, 4, v42
	buffer_load_dwordx4 v[2:5], v11, s[12:15], 0 offen
	buffer_load_dwordx4 v[6:9], v13, s[12:15], 0 offen
	s_nop 0
	buffer_load_dwordx4 v[10:13], v18, s[12:15], 0 offen
	buffer_load_dwordx4 v[14:17], v20, s[12:15], 0 offen
	s_nop 0
	buffer_load_dwordx4 v[18:21], v27, s[12:15], 0 offen
	buffer_load_dwordx4 v[22:25], v29, s[12:15], 0 offen
	v_add_lshl_u32 v35, v26, s20, 2
	buffer_load_dwordx4 v[26:29], v34, s[12:15], 0 offen
	buffer_load_dwordx4 v[30:33], v35, s[12:15], 0 offen
	s_lshl_b32 s14, s23, 2
	s_and_b32 s13, s7, 0xffff
	s_mov_b32 s12, s6
	v_lshlrev_b32_e32 v43, 2, v42
	v_lshlrev_b32_e32 v45, 2, v44
	v_add_lshl_u32 v52, v44, s22, 2
	buffer_load_dwordx4 v[34:37], v43, s[12:15], 0 offen
	buffer_load_dwordx4 v[38:41], v45, s[12:15], 0 offen
	v_add_lshl_u32 v53, v42, s22, 2
	buffer_load_dwordx4 v[42:45], v52, s[12:15], 0 offen
	buffer_load_dwordx4 v[46:49], v53, s[12:15], 0 offen
	s_movk_i32 s4, 0x2020
	v_and_b32_e32 v53, 0x80, v0
	v_lshlrev_b32_e32 v1, 5, v1
	v_bfe_u32 v52, v0, 4, 2
	v_mad_u32_u24 v1, v50, s4, v1
	v_lshl_add_u32 v50, v51, 5, v54
	v_lshl_or_b32 v51, v53, 2, v55
	v_mad_u32_u24 v77, v52, s4, v51
	s_movk_i32 s6, 0x200
	s_movk_i32 s5, 0x1020
	s_lshl_b32 s14, s2, 2
	s_and_b32 s13, s9, 0xffff
	s_mov_b32 s12, s8
	s_mov_b32 s8, 0xbfcc4231
	;; [unrolled: 1-line block ×3, first 2 shown]
	s_waitcnt vmcnt(11)
	ds_write_b128 v1, v[2:5]
	s_waitcnt vmcnt(10)
	ds_write_b128 v1, v[6:9] offset:16
	s_waitcnt vmcnt(9)
	ds_write_b128 v1, v[10:13] offset:48
	;; [unrolled: 2-line block ×11, first 2 shown]
	s_waitcnt lgkmcnt(0)
	s_barrier
	ds_read_b128 v[6:9], v77
	v_lshlrev_b32_e32 v1, 3, v0
	v_and_or_b32 v1, v1, s6, v55
	v_mad_u32_u24 v1, v52, s5, v1
	ds_read_b128 v[38:41], v1 offset:32864
	ds_read_b128 v[72:75], v77 offset:16
	;; [unrolled: 1-line block ×6, first 2 shown]
	s_waitcnt lgkmcnt(5)
	v_mfma_f32_16x16x4_f32 v[10:13], v6, v38, 0
	ds_read_b128 v[98:101], v77 offset:1024
	ds_read_b128 v[94:97], v77 offset:1040
	s_and_b32 s5, s11, 0xffff
	s_mov_b32 s11, 0x42b17218
	s_waitcnt lgkmcnt(4)
	v_mfma_f32_16x16x4_f32 v[14:17], v6, v34, 0
	s_waitcnt lgkmcnt(3)
	v_mfma_f32_16x16x4_f32 v[18:21], v6, v30, 0
	s_waitcnt lgkmcnt(2)
	v_mfma_f32_16x16x4_f32 v[26:29], v6, v22, 0
	v_mfma_f32_16x16x4_f32 v[10:13], v7, v39, v[10:13]
	v_mfma_f32_16x16x4_f32 v[14:17], v7, v35, v[14:17]
	;; [unrolled: 1-line block ×12, first 2 shown]
	ds_read_b128 v[6:9], v1 offset:33904
	s_waitcnt lgkmcnt(2)
	v_mfma_f32_16x16x4_f32 v[42:45], v98, v38, 0
	v_mfma_f32_16x16x4_f32 v[42:45], v99, v39, v[42:45]
	;; [unrolled: 1-line block ×4, first 2 shown]
	s_waitcnt lgkmcnt(0)
	v_mfma_f32_16x16x4_f32 v[46:49], v72, v6, v[14:17]
	ds_read_b128 v[14:17], v1 offset:34928
	v_mfma_f32_16x16x4_f32 v[42:45], v101, v41, v[42:45]
	v_mfma_f32_16x16x4_f32 v[10:13], v73, v3, v[10:13]
	;; [unrolled: 1-line block ×9, first 2 shown]
	s_waitcnt lgkmcnt(0)
	v_mfma_f32_16x16x4_f32 v[50:53], v72, v14, v[18:21]
	ds_read_b128 v[18:21], v1 offset:35952
	s_load_dword s4, s[0:1], 0x118
	s_load_dword s19, s[0:1], 0x128
	;; [unrolled: 1-line block ×3, first 2 shown]
	v_lshrrev_b32_e32 v1, 2, v0
	v_and_b32_e32 v1, 12, v1
	s_load_dwordx2 s[0:1], s[0:1], 0x20
	s_waitcnt lgkmcnt(0)
	s_and_b32 s1, s1, 0xffff
	v_mfma_f32_16x16x4_f32 v[114:117], v100, v36, v[114:117]
	v_mfma_f32_16x16x4_f32 v[26:29], v72, v18, v[26:29]
	;; [unrolled: 1-line block ×10, first 2 shown]
	v_lshrrev_b32_e32 v74, 3, v0
	v_and_or_b32 v1, v74, 16, v1
	v_lshl_or_b32 v123, s18, 8, v74
	v_lshlrev_b32_e32 v1, 7, v1
	s_lshl_b32 s18, s16, 5
	v_mfma_f32_16x16x4_f32 v[106:109], v75, v9, v[46:49]
	v_mfma_f32_16x16x4_f32 v[86:89], v75, v17, v[50:53]
	ds_read_b128 v[70:73], v77 offset:2064
	ds_read_b128 v[90:93], v77 offset:2048
	;; [unrolled: 1-line block ×12, first 2 shown]
	v_lshlrev_b32_e32 v77, 2, v0
	v_and_b32_e32 v77, 28, v77
	v_lshl_or_b32 v136, s3, 7, v77
	v_mad_u64_u32 v[120:121], s[6:7], v123, s17, v[136:137]
	v_and_b32_e32 v0, 64, v0
	v_mad_u64_u32 v[118:119], s[6:7], v123, s16, v[136:137]
	v_or3_b32 v121, v0, v1, v76
	s_waitcnt lgkmcnt(0)
	s_barrier
	ds_write2_b32 v121, v110, v111 offset1:32
	ds_write2_b32 v121, v112, v113 offset0:64 offset1:96
	v_mfma_f32_16x16x4_f32 v[110:113], v95, v7, v[114:117]
	v_lshlrev_b32_e32 v114, 2, v118
	s_waitcnt lgkmcnt(0)
	s_barrier
	buffer_load_dwordx4 v[124:127], v114, s[12:15], 0 offen
	s_lshl_b32 s6, s4, 2
	s_mov_b32 s4, s10
	s_mov_b32 s7, s15
	v_lshlrev_b32_e32 v115, 2, v120
	buffer_load_dwordx4 v[128:131], v115, s[4:7], 0 offen
	v_lshlrev_b32_e32 v0, 2, v77
	v_lshl_or_b32 v122, v74, 7, v0
	ds_read_b128 v[132:135], v122
	v_mfma_f32_16x16x4_f32 v[110:113], v96, v8, v[110:113]
	s_mov_b32 s10, 0xc2ce8ed0
	v_mov_b32_e32 v119, 0x7f800000
	s_lshl_b32 s17, s17, 5
	s_lshl_b32 s16, s19, 5
	s_waitcnt vmcnt(1) lgkmcnt(0)
	v_pk_add_f32 v[0:1], v[132:133], v[124:125]
	v_mfma_f32_16x16x4_f32 v[102:105], v75, v21, v[102:105]
	s_waitcnt vmcnt(0)
	v_add_f32_e64 v116, v0, v128
	v_add_f32_e64 v117, v1, v129
	v_mul_f32_e32 v0, 0x3d92220c, v116
	v_mul_f32_e32 v1, 0x3d92220c, v117
	v_fma_f32 v0, -v116, v0, s8
	v_fma_f32 v1, -v117, v1, s8
	v_mul_f32_e32 v124, v116, v0
	v_mul_f32_e32 v125, v117, v1
	;; [unrolled: 1-line block ×4, first 2 shown]
	v_fma_f32 v128, v124, s9, -v0
	v_rndne_f32_e32 v129, v0
	v_fma_f32 v132, v125, s9, -v1
	v_rndne_f32_e32 v133, v1
	v_fmac_f32_e32 v128, 0x32a5705f, v124
	v_sub_f32_e32 v0, v0, v129
	v_fmac_f32_e32 v132, 0x32a5705f, v125
	v_sub_f32_e32 v1, v1, v133
	v_add_f32_e32 v0, v0, v128
	v_mfma_f32_16x16x4_f32 v[74:77], v97, v5, v[82:85]
	v_add_f32_e32 v1, v1, v132
	v_cmp_ngt_f32_e32 vcc, s10, v124
	v_mfma_f32_16x16x4_f32 v[82:85], v97, v9, v[110:113]
	v_cvt_i32_f32_e32 v110, v129
	v_exp_f32_e32 v112, v0
	v_cvt_i32_f32_e32 v111, v133
	v_exp_f32_e32 v113, v1
	v_mad_u64_u32 v[0:1], s[2:3], v123, s19, v[136:137]
	v_ldexp_f32 v1, v112, v110
	v_ldexp_f32 v110, v113, v111
	v_cndmask_b32_e32 v1, 0, v1, vcc
	v_cmp_ngt_f32_e32 vcc, s10, v125
	s_lshl_b32 s2, s20, 2
	s_mov_b32 s3, s15
	v_cndmask_b32_e32 v123, 0, v110, vcc
	v_cmp_nlt_f32_e32 vcc, s11, v124
	v_mfma_f32_16x16x4_f32 v[110:113], v98, v30, 0
	s_nop 0
	v_cndmask_b32_e32 v124, v119, v1, vcc
	v_cmp_nlt_f32_e32 vcc, s11, v125
	s_nop 1
	v_cndmask_b32_e32 v125, v119, v123, vcc
	v_add_f32_e64 v124, v124, 1.0
	v_add_f32_e64 v125, v125, 1.0
	v_mfma_f32_16x16x4_f32 v[110:113], v99, v31, v[110:113]
	v_frexp_mant_f32_e32 v1, v124
	v_rcp_f32_e32 v1, v1
	v_frexp_exp_i32_f32_e32 v123, v124
	v_frexp_mant_f32_e32 v124, v125
	v_rcp_f32_e32 v128, v124
	v_sub_u32_e32 v123, 0, v123
	v_ldexp_f32 v124, v1, v123
	v_frexp_exp_i32_f32_e32 v1, v125
	v_sub_u32_e32 v1, 0, v1
	v_ldexp_f32 v125, v128, v1
	v_pk_mul_f32 v[124:125], v[116:117], v[124:125]
	v_pk_add_f32 v[116:117], v[134:135], v[126:127]
	v_mfma_f32_16x16x4_f32 v[110:113], v100, v32, v[110:113]
	v_add_f32_e64 v116, v116, v130
	v_add_f32_e64 v117, v117, v131
	v_mul_f32_e32 v1, 0x3d92220c, v116
	v_fma_f32 v1, -v116, v1, s8
	v_mul_f32_e32 v123, v116, v1
	v_mul_f32_e32 v1, 0x3fb8aa3b, v123
	v_fma_f32 v126, v123, s9, -v1
	v_rndne_f32_e32 v127, v1
	v_fmac_f32_e32 v126, 0x32a5705f, v123
	v_sub_f32_e32 v1, v1, v127
	v_add_f32_e32 v1, v1, v126
	v_exp_f32_e32 v126, v1
	v_cvt_i32_f32_e32 v127, v127
	v_cmp_ngt_f32_e32 vcc, s10, v123
	v_lshlrev_b32_e32 v1, 2, v0
	v_mfma_f32_16x16x4_f32 v[110:113], v101, v33, v[110:113]
	v_ldexp_f32 v126, v126, v127
	v_mul_f32_e32 v127, 0x3d92220c, v117
	v_fma_f32 v127, -v117, v127, s8
	v_mul_f32_e32 v131, v117, v127
	v_mul_f32_e32 v127, 0x3fb8aa3b, v131
	v_fma_f32 v128, v131, s9, -v127
	v_rndne_f32_e32 v129, v127
	v_fmac_f32_e32 v128, 0x32a5705f, v131
	v_sub_f32_e32 v127, v127, v129
	v_add_f32_e32 v127, v127, v128
	v_exp_f32_e32 v127, v127
	v_cvt_i32_f32_e32 v128, v129
	v_cndmask_b32_e32 v126, 0, v126, vcc
	v_cmp_nlt_f32_e32 vcc, s11, v123
	v_mfma_f32_16x16x4_f32 v[110:113], v94, v14, v[110:113]
	v_ldexp_f32 v123, v127, v128
	v_cndmask_b32_e32 v130, v119, v126, vcc
	v_cmp_ngt_f32_e32 vcc, s10, v131
	s_nop 1
	v_cndmask_b32_e32 v123, 0, v123, vcc
	v_cmp_nlt_f32_e32 vcc, s11, v131
	v_mfma_f32_16x16x4_f32 v[126:129], v98, v22, 0
	s_nop 0
	v_cndmask_b32_e32 v131, v119, v123, vcc
	v_add_f32_e64 v132, v130, 1.0
	v_add_f32_e64 v133, v131, 1.0
	v_frexp_mant_f32_e32 v98, v132
	v_rcp_f32_e32 v98, v98
	v_frexp_exp_i32_f32_e32 v123, v132
	v_frexp_mant_f32_e32 v132, v133
	v_mfma_f32_16x16x4_f32 v[128:131], v99, v23, v[126:129]
	v_rcp_f32_e32 v99, v132
	v_sub_u32_e32 v123, 0, v123
	v_ldexp_f32 v98, v98, v123
	v_frexp_exp_i32_f32_e32 v123, v133
	v_sub_u32_e32 v123, 0, v123
	v_ldexp_f32 v99, v99, v123
	v_pk_mul_f32 v[126:127], v[116:117], v[98:99]
	buffer_store_dwordx4 v[124:127], v1, s[0:3], 0 offen
	s_waitcnt lgkmcnt(0)
	s_barrier
	ds_write2_b32 v121, v106, v107 offset1:32
	ds_write2_b32 v121, v108, v109 offset0:64 offset1:96
	s_waitcnt lgkmcnt(0)
	s_barrier
	buffer_load_dwordx4 v[106:109], v114, s[12:15], 0 offen offset:128
	v_mfma_f32_16x16x4_f32 v[124:127], v100, v24, v[128:131]
	buffer_load_dwordx4 v[128:131], v115, s[4:7], 0 offen offset:128
	ds_read_b128 v[132:135], v122
	s_waitcnt vmcnt(1) lgkmcnt(0)
	v_add_f32_e64 v106, v132, v106
	v_add_f32_e64 v107, v133, v107
	v_mfma_f32_16x16x4_f32 v[110:113], v95, v15, v[110:113]
	s_waitcnt vmcnt(0)
	v_add_f32_e64 v116, v106, v128
	v_add_f32_e64 v117, v107, v129
	v_mul_f32_e32 v106, 0x3d92220c, v116
	v_mul_f32_e32 v107, 0x3d92220c, v117
	v_fma_f32 v106, -v116, v106, s8
	v_fma_f32 v107, -v117, v107, s8
	v_mul_f32_e32 v106, v116, v106
	v_mfma_f32_16x16x4_f32 v[110:113], v96, v16, v[110:113]
	v_mul_f32_e32 v107, v117, v107
	v_mul_f32_e32 v123, 0x3fb8aa3b, v106
	;; [unrolled: 1-line block ×3, first 2 shown]
	v_fma_f32 v129, v106, s9, -v123
	v_rndne_f32_e32 v132, v123
	v_fma_f32 v133, v107, s9, -v128
	v_rndne_f32_e32 v136, v128
	v_mfma_f32_16x16x4_f32 v[124:127], v101, v25, v[124:127]
	v_fmac_f32_e32 v129, 0x32a5705f, v106
	v_fmac_f32_e32 v133, 0x32a5705f, v107
	v_cmp_ngt_f32_e32 vcc, s10, v106
	v_mfma_f32_16x16x4_f32 v[98:101], v97, v17, v[110:113]
	v_mfma_f32_16x16x4_f32 v[110:113], v94, v18, v[124:127]
	v_sub_f32_e32 v94, v123, v132
	s_nop 3
	v_sub_f32_e32 v124, v128, v136
	v_add_f32_e32 v94, v94, v129
	v_cvt_i32_f32_e32 v123, v132
	v_add_f32_e32 v124, v124, v133
	v_exp_f32_e32 v94, v94
	v_cvt_i32_f32_e32 v125, v136
	v_mfma_f32_16x16x4_f32 v[110:113], v95, v19, v[110:113]
	v_exp_f32_e32 v124, v124
	v_ldexp_f32 v94, v94, v123
	v_cndmask_b32_e32 v94, 0, v94, vcc
	v_cmp_ngt_f32_e32 vcc, s10, v107
	v_ldexp_f32 v123, v124, v125
	s_nop 0
	v_cndmask_b32_e32 v95, 0, v123, vcc
	v_cmp_nlt_f32_e32 vcc, s11, v106
	v_mfma_f32_16x16x4_f32 v[110:113], v96, v20, v[110:113]
	s_nop 0
	v_cndmask_b32_e32 v94, v119, v94, vcc
	v_cmp_nlt_f32_e32 vcc, s11, v107
	s_nop 1
	v_cndmask_b32_e32 v95, v119, v95, vcc
	v_add_f32_e64 v94, v94, 1.0
	v_add_f32_e64 v95, v95, 1.0
	v_frexp_mant_f32_e32 v106, v94
	v_rcp_f32_e32 v96, v106
	v_frexp_exp_i32_f32_e32 v94, v94
	v_sub_u32_e32 v94, 0, v94
	v_frexp_mant_f32_e32 v106, v95
	v_ldexp_f32 v124, v96, v94
	v_frexp_exp_i32_f32_e32 v94, v95
	v_sub_u32_e32 v123, 0, v94
	v_mfma_f32_16x16x4_f32 v[94:97], v97, v21, v[110:113]
	v_rcp_f32_e32 v110, v106
	v_pk_add_f32 v[106:107], v[134:135], v[108:109]
	s_nop 0
	v_pk_add_f32 v[112:113], v[106:107], v[130:131]
	s_nop 0
	v_mul_f32_e32 v106, 0x3d92220c, v112
	v_fma_f32 v106, -v112, v106, s8
	v_mul_f32_e32 v126, v112, v106
	v_mul_f32_e32 v111, 0x3fb8aa3b, v126
	v_fma_f32 v125, v126, s9, -v111
	v_rndne_f32_e32 v127, v111
	v_fmac_f32_e32 v125, 0x32a5705f, v126
	v_sub_f32_e32 v111, v111, v127
	v_add_f32_e32 v111, v111, v125
	v_ldexp_f32 v125, v110, v123
	v_exp_f32_e32 v128, v111
	v_pk_mul_f32 v[110:111], v[116:117], v[124:125]
	v_mul_f32_e32 v117, 0x3d92220c, v113
	v_fma_f32 v117, -v113, v117, s8
	v_mul_f32_e32 v117, v113, v117
	v_mul_f32_e32 v123, 0x3fb8aa3b, v117
	v_fma_f32 v124, v117, s9, -v123
	v_rndne_f32_e32 v125, v123
	v_cvt_i32_f32_e32 v127, v127
	v_fmac_f32_e32 v124, 0x32a5705f, v117
	v_sub_f32_e32 v123, v123, v125
	v_add_f32_e32 v123, v123, v124
	v_exp_f32_e32 v123, v123
	v_cvt_i32_f32_e32 v124, v125
	v_ldexp_f32 v116, v128, v127
	v_cmp_ngt_f32_e32 vcc, s10, v126
	v_mfma_f32_16x16x4_f32 v[106:109], v90, v38, 0
	v_ldexp_f32 v123, v123, v124
	v_cndmask_b32_e32 v116, 0, v116, vcc
	v_cmp_nlt_f32_e32 vcc, s11, v126
	s_nop 1
	v_cndmask_b32_e32 v116, v119, v116, vcc
	v_cmp_ngt_f32_e32 vcc, s10, v117
	v_mfma_f32_16x16x4_f32 v[106:109], v91, v39, v[106:109]
	s_nop 0
	v_cndmask_b32_e32 v123, 0, v123, vcc
	v_cmp_nlt_f32_e32 vcc, s11, v117
	s_nop 1
	v_cndmask_b32_e32 v117, v119, v123, vcc
	v_add_f32_e64 v116, v116, 1.0
	v_add_f32_e64 v117, v117, 1.0
	v_mfma_f32_16x16x4_f32 v[106:109], v92, v40, v[106:109]
	v_frexp_mant_f32_e32 v123, v116
	v_frexp_mant_f32_e32 v124, v117
	v_rcp_f32_e32 v123, v123
	v_rcp_f32_e32 v124, v124
	v_frexp_exp_i32_f32_e32 v116, v116
	v_frexp_exp_i32_f32_e32 v117, v117
	v_sub_u32_e32 v116, 0, v116
	v_sub_u32_e32 v117, 0, v117
	v_ldexp_f32 v116, v123, v116
	v_ldexp_f32 v117, v124, v117
	v_pk_mul_f32 v[112:113], v[112:113], v[116:117]
	buffer_store_dwordx4 v[110:113], v1, s[0:3], 0 offen offset:128
	s_waitcnt lgkmcnt(0)
	s_barrier
	ds_write2_b32 v121, v86, v87 offset1:32
	ds_write2_b32 v121, v88, v89 offset0:64 offset1:96
	s_waitcnt lgkmcnt(0)
	s_barrier
	buffer_load_dwordx4 v[86:89], v114, s[12:15], 0 offen offset:256
	buffer_load_dwordx4 v[128:131], v115, s[4:7], 0 offen offset:256
	v_mfma_f32_16x16x4_f32 v[106:109], v93, v41, v[106:109]
	ds_read_b128 v[132:135], v122
	s_waitcnt vmcnt(1) lgkmcnt(0)
	v_add_f32_e64 v86, v132, v86
	v_add_f32_e64 v87, v133, v87
	v_mfma_f32_16x16x4_f32 v[106:109], v70, v2, v[106:109]
	s_waitcnt vmcnt(0)
	v_add_f32_e64 v116, v86, v128
	v_add_f32_e64 v117, v87, v129
	v_add_u32_e32 v132, 0x60, v0
	v_mul_f32_e32 v86, 0x3d92220c, v116
	v_fma_f32 v86, -v116, v86, s8
	v_mul_f32_e32 v86, v116, v86
	v_mul_f32_e32 v123, 0x3fb8aa3b, v86
	v_fma_f32 v128, v86, s9, -v123
	v_mfma_f32_16x16x4_f32 v[106:109], v71, v3, v[106:109]
	v_rndne_f32_e32 v129, v123
	v_fmac_f32_e32 v128, 0x32a5705f, v86
	v_sub_f32_e32 v123, v123, v129
	v_add_f32_e32 v123, v123, v128
	v_mul_f32_e32 v87, 0x3d92220c, v117
	v_exp_f32_e32 v123, v123
	v_fma_f32 v87, -v117, v87, s8
	v_mfma_f32_16x16x4_f32 v[106:109], v72, v4, v[106:109]
	v_mul_f32_e32 v87, v117, v87
	v_cmp_ngt_f32_e32 vcc, s10, v86
	v_mfma_f32_16x16x4_f32 v[124:127], v90, v34, 0
	v_mfma_f32_16x16x4_f32 v[110:113], v73, v5, v[106:109]
	;; [unrolled: 1-line block ×3, first 2 shown]
	s_nop 7
	v_cvt_i32_f32_e32 v124, v129
	v_mul_f32_e32 v125, 0x3fb8aa3b, v87
	v_fma_f32 v126, v87, s9, -v125
	v_fmac_f32_e32 v126, 0x32a5705f, v87
	v_ldexp_f32 v123, v123, v124
	v_rndne_f32_e32 v124, v125
	v_sub_f32_e32 v125, v125, v124
	v_mfma_f32_16x16x4_f32 v[106:109], v92, v36, v[106:109]
	v_add_f32_e32 v125, v125, v126
	v_exp_f32_e32 v125, v125
	v_cvt_i32_f32_e32 v124, v124
	v_cndmask_b32_e32 v123, 0, v123, vcc
	v_cmp_nlt_f32_e32 vcc, s11, v86
	v_mfma_f32_16x16x4_f32 v[106:109], v93, v37, v[106:109]
	s_nop 0
	v_cndmask_b32_e32 v86, v119, v123, vcc
	v_ldexp_f32 v123, v125, v124
	v_cmp_ngt_f32_e32 vcc, s10, v87
	s_nop 1
	v_cndmask_b32_e32 v123, 0, v123, vcc
	v_cmp_nlt_f32_e32 vcc, s11, v87
	v_mfma_f32_16x16x4_f32 v[106:109], v70, v6, v[106:109]
	s_nop 0
	v_cndmask_b32_e32 v87, v119, v123, vcc
	v_add_f32_e64 v86, v86, 1.0
	v_add_f32_e64 v87, v87, 1.0
	v_frexp_mant_f32_e32 v123, v86
	v_rcp_f32_e32 v123, v123
	v_frexp_exp_i32_f32_e32 v86, v86
	v_sub_u32_e32 v86, 0, v86
	v_mfma_f32_16x16x4_f32 v[106:109], v71, v7, v[106:109]
	v_ldexp_f32 v124, v123, v86
	v_frexp_mant_f32_e32 v86, v87
	v_frexp_exp_i32_f32_e32 v87, v87
	v_sub_u32_e32 v123, 0, v87
	v_rcp_f32_e32 v125, v86
	v_pk_add_f32 v[86:87], v[134:135], v[88:89]
	v_ldexp_f32 v125, v125, v123
	v_pk_add_f32 v[128:129], v[86:87], v[130:131]
	s_nop 0
	v_mul_f32_e32 v86, 0x3d92220c, v128
	v_fma_f32 v86, -v128, v86, s8
	v_mul_f32_e32 v130, v128, v86
	v_mul_f32_e32 v126, 0x3fb8aa3b, v130
	v_mfma_f32_16x16x4_f32 v[86:89], v72, v8, v[106:109]
	v_fma_f32 v106, v130, s9, -v126
	v_rndne_f32_e32 v107, v126
	v_fmac_f32_e32 v106, 0x32a5705f, v130
	v_sub_f32_e32 v108, v126, v107
	v_add_f32_e32 v106, v108, v106
	v_exp_f32_e32 v108, v106
	v_cvt_i32_f32_e32 v109, v107
	v_pk_mul_f32 v[106:107], v[116:117], v[124:125]
	v_cmp_ngt_f32_e32 vcc, s10, v130
	v_mfma_f32_16x16x4_f32 v[124:127], v90, v30, 0
	v_ldexp_f32 v108, v108, v109
	v_mul_f32_e32 v109, 0x3d92220c, v129
	v_fma_f32 v109, -v129, v109, s8
	v_mul_f32_e32 v109, v129, v109
	v_mul_f32_e32 v116, 0x3fb8aa3b, v109
	v_fma_f32 v117, v109, s9, -v116
	v_rndne_f32_e32 v123, v116
	v_fmac_f32_e32 v117, 0x32a5705f, v109
	v_sub_f32_e32 v116, v116, v123
	v_add_f32_e32 v116, v116, v117
	v_exp_f32_e32 v116, v116
	v_cvt_i32_f32_e32 v117, v123
	v_cndmask_b32_e32 v108, 0, v108, vcc
	v_cmp_nlt_f32_e32 vcc, s11, v130
	v_add_u32_e32 v123, 0x60, v118
	v_ldexp_f32 v116, v116, v117
	v_cndmask_b32_e32 v108, v119, v108, vcc
	v_cmp_ngt_f32_e32 vcc, s10, v109
	v_add_u32_e32 v130, 0x60, v120
	v_mfma_f32_16x16x4_f32 v[124:127], v91, v31, v[124:127]
	v_cndmask_b32_e32 v116, 0, v116, vcc
	v_cmp_nlt_f32_e32 vcc, s11, v109
	v_add_u32_e32 v118, s18, v118
	v_add_u32_e32 v120, s17, v120
	v_cndmask_b32_e32 v109, v119, v116, vcc
	v_pk_add_f32 v[108:109], v[108:109], 1.0 op_sel_hi:[1,0]
	s_nop 0
	v_frexp_mant_f32_e32 v116, v108
	v_frexp_mant_f32_e32 v117, v109
	v_rcp_f32_e32 v116, v116
	v_rcp_f32_e32 v117, v117
	v_frexp_exp_i32_f32_e32 v108, v108
	v_frexp_exp_i32_f32_e32 v109, v109
	v_sub_u32_e32 v108, 0, v108
	v_sub_u32_e32 v109, 0, v109
	v_ldexp_f32 v108, v116, v108
	v_ldexp_f32 v109, v117, v109
	v_pk_mul_f32 v[108:109], v[128:129], v[108:109]
	buffer_store_dwordx4 v[106:109], v1, s[0:3], 0 offen offset:256
	s_waitcnt lgkmcnt(0)
	s_barrier
	ds_write2_b32 v121, v102, v103 offset1:32
	ds_write2_b32 v121, v104, v105 offset0:64 offset1:96
	v_lshlrev_b32_e32 v102, 2, v123
	s_waitcnt lgkmcnt(0)
	s_barrier
	buffer_load_dwordx2 v[106:107], v102, s[12:15], 0 offen
	v_lshlrev_b32_e32 v102, 2, v130
	buffer_load_dwordx2 v[108:109], v102, s[4:7], 0 offen
	v_mfma_f32_16x16x4_f32 v[124:127], v92, v32, v[124:127]
	v_mfma_f32_16x16x4_f32 v[124:127], v93, v33, v[124:127]
	;; [unrolled: 1-line block ×4, first 2 shown]
	s_nop 8
	buffer_load_dwordx2 v[124:125], v114, s[12:15], 0 offen offset:392
	buffer_load_dwordx2 v[126:127], v115, s[4:7], 0 offen offset:392
	ds_read_b128 v[114:117], v122
	s_waitcnt vmcnt(3) lgkmcnt(0)
	v_add_f32_e64 v106, v114, v106
	v_add_f32_e64 v107, v115, v107
	v_mfma_f32_16x16x4_f32 v[102:105], v72, v16, v[102:105]
	s_waitcnt vmcnt(2)
	v_add_f32_e64 v114, v106, v108
	v_add_f32_e64 v115, v107, v109
	v_mul_f32_e32 v106, 0x3d92220c, v114
	v_fma_f32 v106, -v114, v106, s8
	v_mul_f32_e32 v128, v114, v106
	v_cmp_ngt_f32_e32 vcc, s10, v128
	v_mfma_f32_16x16x4_f32 v[106:109], v73, v17, v[102:105]
	s_nop 1
	v_mul_f32_e32 v102, 0x3fb8aa3b, v128
	v_fma_f32 v103, v128, s9, -v102
	v_rndne_f32_e32 v129, v102
	v_fmac_f32_e32 v103, 0x32a5705f, v128
	v_sub_f32_e32 v102, v102, v129
	v_add_f32_e32 v102, v102, v103
	v_exp_f32_e32 v131, v102
	v_mfma_f32_16x16x4_f32 v[102:105], v90, v22, 0
	v_cvt_i32_f32_e32 v90, v129
	v_mul_f32_e32 v129, 0x3d92220c, v115
	v_fma_f32 v129, -v115, v129, s8
	v_mul_f32_e32 v129, v115, v129
	v_ldexp_f32 v90, v131, v90
	v_cndmask_b32_e32 v90, 0, v90, vcc
	v_cmp_nlt_f32_e32 vcc, s11, v128
	v_mfma_f32_16x16x4_f32 v[102:105], v91, v23, v[102:105]
	v_mul_f32_e32 v91, 0x3fb8aa3b, v129
	v_fma_f32 v131, v129, s9, -v91
	v_rndne_f32_e32 v133, v91
	v_fmac_f32_e32 v131, 0x32a5705f, v129
	v_sub_f32_e32 v91, v91, v133
	v_add_f32_e32 v91, v91, v131
	v_exp_f32_e32 v91, v91
	v_mfma_f32_16x16x4_f32 v[102:105], v92, v24, v[102:105]
	v_cvt_i32_f32_e32 v92, v133
	v_cndmask_b32_e32 v128, v119, v90, vcc
	v_cmp_ngt_f32_e32 vcc, s10, v129
	v_ldexp_f32 v131, v91, v92
	v_mfma_f32_16x16x4_f32 v[90:93], v93, v25, v[102:105]
	s_nop 4
	v_cndmask_b32_e32 v102, 0, v131, vcc
	v_cmp_nlt_f32_e32 vcc, s11, v129
	s_nop 1
	v_cndmask_b32_e32 v129, v119, v102, vcc
	v_add_f32_e64 v102, v128, 1.0
	v_add_f32_e64 v103, v129, 1.0
	v_mfma_f32_16x16x4_f32 v[90:93], v70, v18, v[90:93]
	v_frexp_mant_f32_e32 v104, v102
	v_frexp_exp_i32_f32_e32 v102, v102
	v_rcp_f32_e32 v104, v104
	v_sub_u32_e32 v70, 0, v102
	v_frexp_mant_f32_e32 v102, v103
	v_rcp_f32_e32 v105, v102
	v_ldexp_f32 v102, v104, v70
	v_mfma_f32_16x16x4_f32 v[90:93], v71, v19, v[90:93]
	v_frexp_exp_i32_f32_e32 v70, v103
	v_sub_u32_e32 v70, 0, v70
	v_ldexp_f32 v103, v105, v70
	v_mul_f32_e64 v70, v114, v102
	v_mul_f32_e64 v71, v115, v103
	s_waitcnt vmcnt(1)
	v_pk_add_f32 v[102:103], v[116:117], v[124:125]
	s_waitcnt vmcnt(0)
	v_pk_add_f32 v[114:115], v[102:103], v[126:127]
	v_mfma_f32_16x16x4_f32 v[90:93], v72, v20, v[90:93]
	v_mul_f32_e32 v102, 0x3d92220c, v114
	v_fma_f32 v102, -v114, v102, s8
	v_mul_f32_e32 v116, v114, v102
	v_mul_f32_e32 v102, 0x3fb8aa3b, v116
	v_fma_f32 v72, v116, s9, -v102
	v_rndne_f32_e32 v103, v102
	v_fmac_f32_e32 v72, 0x32a5705f, v116
	v_sub_f32_e32 v102, v102, v103
	v_mfma_f32_16x16x4_f32 v[86:89], v73, v9, v[86:89]
	v_add_f32_e32 v72, v102, v72
	v_cvt_i32_f32_e32 v117, v103
	v_exp_f32_e32 v72, v72
	v_cmp_ngt_f32_e32 vcc, s10, v116
	v_mfma_f32_16x16x4_f32 v[102:105], v73, v21, v[90:93]
	v_lshlrev_b32_e32 v73, 2, v132
	buffer_store_dwordx2 v[70:71], v73, s[0:3], 0 offen
	v_mul_f32_e32 v70, 0x3d92220c, v115
	v_fma_f32 v70, -v115, v70, s8
	v_mul_f32_e32 v91, v115, v70
	v_mul_f32_e32 v92, 0x3fb8aa3b, v91
	v_ldexp_f32 v90, v72, v117
	v_fma_f32 v93, v91, s9, -v92
	v_rndne_f32_e32 v117, v92
	v_fmac_f32_e32 v93, 0x32a5705f, v91
	v_sub_f32_e32 v92, v92, v117
	v_add_f32_e32 v92, v92, v93
	v_exp_f32_e32 v92, v92
	v_cvt_i32_f32_e32 v93, v117
	v_cndmask_b32_e32 v90, 0, v90, vcc
	v_cmp_nlt_f32_e32 vcc, s11, v116
	v_mfma_f32_16x16x4_f32 v[124:127], v78, v34, 0
	v_ldexp_f32 v92, v92, v93
	v_cndmask_b32_e32 v90, v119, v90, vcc
	v_cmp_ngt_f32_e32 vcc, s10, v91
	s_nop 1
	v_cndmask_b32_e32 v92, 0, v92, vcc
	v_cmp_nlt_f32_e32 vcc, s11, v91
	v_mfma_f32_16x16x4_f32 v[124:127], v79, v35, v[124:127]
	s_nop 0
	v_cndmask_b32_e32 v91, v119, v92, vcc
	v_add_f32_e64 v90, v90, 1.0
	v_add_f32_e64 v91, v91, 1.0
	v_frexp_mant_f32_e32 v92, v90
	v_frexp_mant_f32_e32 v93, v91
	v_rcp_f32_e32 v92, v92
	v_rcp_f32_e32 v93, v93
	v_frexp_exp_i32_f32_e32 v90, v90
	v_frexp_exp_i32_f32_e32 v91, v91
	v_sub_u32_e32 v90, 0, v90
	v_sub_u32_e32 v91, 0, v91
	v_ldexp_f32 v90, v92, v90
	v_ldexp_f32 v91, v93, v91
	v_pk_mul_f32 v[90:91], v[114:115], v[90:91]
	buffer_store_dwordx2 v[90:91], v1, s[0:3], 0 offen offset:392
	v_add_lshl_u32 v1, v123, s18, 2
	s_waitcnt lgkmcnt(0)
	s_barrier
	ds_write2_b32 v121, v94, v95 offset1:32
	ds_write2_b32 v121, v96, v97 offset0:64 offset1:96
	s_waitcnt lgkmcnt(0)
	s_barrier
	buffer_load_dwordx4 v[90:93], v1, s[12:15], 0 offen
	v_add_lshl_u32 v123, v130, s17, 2
	buffer_load_dwordx4 v[94:97], v123, s[4:7], 0 offen
	ds_read_b128 v[114:117], v122
	v_mfma_f32_16x16x4_f32 v[124:127], v80, v36, v[124:127]
	v_add_lshl_u32 v130, v132, s16, 2
	s_waitcnt vmcnt(1) lgkmcnt(0)
	v_add_f32_e64 v90, v114, v90
	v_add_f32_e64 v91, v115, v91
	v_mfma_f32_16x16x4_f32 v[124:127], v81, v37, v[124:127]
	s_waitcnt vmcnt(0)
	v_add_f32_e64 v94, v90, v94
	v_add_f32_e64 v95, v91, v95
	v_mul_f32_e32 v90, 0x3d92220c, v94
	v_fma_f32 v90, -v94, v90, s8
	v_mul_f32_e32 v90, v94, v90
	v_mul_f32_e32 v91, 0x3fb8aa3b, v90
	v_fma_f32 v114, v90, s9, -v91
	v_rndne_f32_e32 v115, v91
	v_fmac_f32_e32 v114, 0x32a5705f, v90
	v_sub_f32_e32 v91, v91, v115
	v_add_f32_e32 v91, v91, v114
	v_exp_f32_e32 v91, v91
	v_cvt_i32_f32_e32 v114, v115
	v_cmp_ngt_f32_e32 vcc, s10, v90
	v_mfma_f32_16x16x4_f32 v[124:127], v66, v6, v[124:127]
	v_ldexp_f32 v91, v91, v114
	v_mul_f32_e32 v114, 0x3d92220c, v95
	v_fma_f32 v114, -v95, v114, s8
	v_mul_f32_e32 v114, v95, v114
	v_mul_f32_e32 v115, 0x3fb8aa3b, v114
	v_fma_f32 v128, v114, s9, -v115
	v_rndne_f32_e32 v129, v115
	v_fmac_f32_e32 v128, 0x32a5705f, v114
	v_sub_f32_e32 v115, v115, v129
	v_add_f32_e32 v115, v115, v128
	v_exp_f32_e32 v115, v115
	v_cvt_i32_f32_e32 v128, v129
	v_cndmask_b32_e32 v91, 0, v91, vcc
	v_cmp_nlt_f32_e32 vcc, s11, v90
	v_mfma_f32_16x16x4_f32 v[70:73], v78, v38, 0
	s_nop 0
	v_cndmask_b32_e32 v90, v119, v91, vcc
	v_ldexp_f32 v91, v115, v128
	v_cmp_ngt_f32_e32 vcc, s10, v114
	s_nop 1
	v_cndmask_b32_e32 v91, 0, v91, vcc
	v_cmp_nlt_f32_e32 vcc, s11, v114
	v_mfma_f32_16x16x4_f32 v[70:73], v79, v39, v[70:73]
	s_nop 0
	v_cndmask_b32_e32 v91, v119, v91, vcc
	v_add_f32_e64 v90, v90, 1.0
	v_add_f32_e64 v91, v91, 1.0
	v_frexp_mant_f32_e32 v114, v90
	v_rcp_f32_e32 v114, v114
	v_frexp_exp_i32_f32_e32 v90, v90
	v_sub_u32_e32 v90, 0, v90
	v_mfma_f32_16x16x4_f32 v[70:73], v80, v40, v[70:73]
	v_ldexp_f32 v114, v114, v90
	v_frexp_mant_f32_e32 v90, v91
	v_frexp_exp_i32_f32_e32 v91, v91
	v_sub_u32_e32 v115, 0, v91
	v_rcp_f32_e32 v128, v90
	v_pk_add_f32 v[90:91], v[116:117], v[92:93]
	v_ldexp_f32 v115, v128, v115
	v_pk_add_f32 v[116:117], v[90:91], v[96:97]
	v_pk_mul_f32 v[114:115], v[94:95], v[114:115]
	v_mul_f32_e32 v90, 0x3d92220c, v116
	v_fma_f32 v90, -v116, v90, s8
	v_mul_f32_e32 v129, v116, v90
	v_mfma_f32_16x16x4_f32 v[90:93], v67, v7, v[124:127]
	v_mul_f32_e32 v96, 0x3fb8aa3b, v129
	v_fma_f32 v97, v129, s9, -v96
	v_rndne_f32_e32 v124, v96
	v_fmac_f32_e32 v97, 0x32a5705f, v129
	v_sub_f32_e32 v96, v96, v124
	v_add_f32_e32 v96, v96, v97
	v_exp_f32_e32 v96, v96
	v_mfma_f32_16x16x4_f32 v[90:93], v68, v8, v[90:93]
	v_cvt_i32_f32_e32 v97, v124
	v_mul_f32_e32 v94, 0x3d92220c, v117
	v_fma_f32 v125, -v117, v94, s8
	v_mul_f32_e32 v125, v117, v125
	v_ldexp_f32 v124, v96, v97
	v_cmp_ngt_f32_e32 vcc, s10, v129
	v_mfma_f32_16x16x4_f32 v[94:97], v69, v9, v[90:93]
	s_nop 2
	v_mul_f32_e32 v90, 0x3fb8aa3b, v125
	v_fma_f32 v91, v125, s9, -v90
	v_rndne_f32_e32 v126, v90
	v_fmac_f32_e32 v91, 0x32a5705f, v125
	v_sub_f32_e32 v90, v90, v126
	v_add_f32_e32 v127, v90, v91
	v_exp_f32_e32 v127, v127
	v_cvt_i32_f32_e32 v126, v126
	v_cndmask_b32_e32 v124, 0, v124, vcc
	v_cmp_nlt_f32_e32 vcc, s11, v129
	v_mfma_f32_16x16x4_f32 v[90:93], v78, v30, 0
	v_ldexp_f32 v126, v127, v126
	v_cndmask_b32_e32 v124, v119, v124, vcc
	v_cmp_ngt_f32_e32 vcc, s10, v125
	s_nop 1
	v_cndmask_b32_e32 v126, 0, v126, vcc
	v_cmp_nlt_f32_e32 vcc, s11, v125
	v_mfma_f32_16x16x4_f32 v[90:93], v79, v31, v[90:93]
	s_nop 0
	v_cndmask_b32_e32 v125, v119, v126, vcc
	v_add_f32_e64 v124, v124, 1.0
	v_add_f32_e64 v125, v125, 1.0
	v_frexp_mant_f32_e32 v126, v124
	v_rcp_f32_e32 v126, v126
	v_frexp_exp_i32_f32_e32 v124, v124
	v_sub_u32_e32 v124, 0, v124
	v_mfma_f32_16x16x4_f32 v[90:93], v80, v32, v[90:93]
	v_ldexp_f32 v124, v126, v124
	v_frexp_mant_f32_e32 v126, v125
	v_rcp_f32_e32 v126, v126
	v_frexp_exp_i32_f32_e32 v125, v125
	v_sub_u32_e32 v125, 0, v125
	v_ldexp_f32 v125, v126, v125
	v_pk_mul_f32 v[116:117], v[116:117], v[124:125]
	buffer_store_dwordx4 v[114:117], v130, s[0:3], 0 offen
	s_waitcnt lgkmcnt(0)
	s_barrier
	ds_write2_b32 v121, v98, v99 offset1:32
	ds_write2_b32 v121, v100, v101 offset0:64 offset1:96
	v_add_u32_e32 v98, 0xffffff80, v1
	s_waitcnt lgkmcnt(0)
	s_barrier
	buffer_load_dwordx2 v[98:99], v98, s[12:15], 0 offen
	v_add_u32_e32 v100, 0xffffff80, v123
	buffer_load_dwordx2 v[100:101], v100, s[4:7], 0 offen
	v_add_u32_e32 v114, 0xffffff88, v1
	;; [unrolled: 2-line block ×3, first 2 shown]
	buffer_load_dwordx2 v[126:127], v114, s[4:7], 0 offen
	v_mfma_f32_16x16x4_f32 v[90:93], v81, v33, v[90:93]
	ds_read_b128 v[114:117], v122
	s_waitcnt vmcnt(3) lgkmcnt(0)
	v_add_f32_e64 v98, v114, v98
	v_add_f32_e64 v99, v115, v99
	v_mfma_f32_16x16x4_f32 v[90:93], v66, v14, v[90:93]
	s_waitcnt vmcnt(2)
	v_add_f32_e64 v114, v98, v100
	v_add_f32_e64 v115, v99, v101
	v_mul_f32_e32 v98, 0x3d92220c, v114
	v_fma_f32 v98, -v114, v98, s8
	v_mul_f32_e32 v128, v114, v98
	v_mul_f32_e32 v98, 0x3fb8aa3b, v128
	v_fma_f32 v129, v128, s9, -v98
	v_mfma_f32_16x16x4_f32 v[90:93], v67, v15, v[90:93]
	v_rndne_f32_e32 v131, v98
	v_fmac_f32_e32 v129, 0x32a5705f, v128
	v_sub_f32_e32 v132, v98, v131
	v_cmp_ngt_f32_e32 vcc, s10, v128
	v_mfma_f32_16x16x4_f32 v[90:93], v68, v16, v[90:93]
	v_mfma_f32_16x16x4_f32 v[98:101], v69, v17, v[90:93]
	s_nop 8
	v_add_f32_e32 v90, v132, v129
	v_exp_f32_e32 v90, v90
	v_cvt_i32_f32_e32 v91, v131
	v_ldexp_f32 v129, v90, v91
	v_mul_f32_e32 v90, 0x3d92220c, v115
	v_fma_f32 v131, -v115, v90, s8
	v_mfma_f32_16x16x4_f32 v[90:93], v78, v22, 0
	v_mul_f32_e32 v131, v115, v131
	v_mul_f32_e32 v78, 0x3fb8aa3b, v131
	v_fma_f32 v132, v131, s9, -v78
	v_rndne_f32_e32 v133, v78
	v_fmac_f32_e32 v132, 0x32a5705f, v131
	v_sub_f32_e32 v78, v78, v133
	v_add_f32_e32 v78, v78, v132
	v_mfma_f32_16x16x4_f32 v[90:93], v79, v23, v[90:93]
	v_exp_f32_e32 v79, v78
	v_cvt_i32_f32_e32 v132, v133
	v_cndmask_b32_e32 v78, 0, v129, vcc
	v_cmp_nlt_f32_e32 vcc, s11, v128
	v_ldexp_f32 v79, v79, v132
	s_nop 0
	v_cndmask_b32_e32 v78, v119, v78, vcc
	v_mfma_f32_16x16x4_f32 v[90:93], v80, v24, v[90:93]
	v_cmp_ngt_f32_e32 vcc, s10, v131
	s_nop 1
	v_cndmask_b32_e32 v79, 0, v79, vcc
	v_cmp_nlt_f32_e32 vcc, s11, v131
	s_nop 1
	v_cndmask_b32_e32 v79, v119, v79, vcc
	v_add_f32_e64 v128, v78, 1.0
	v_add_f32_e64 v129, v79, 1.0
	v_mfma_f32_16x16x4_f32 v[70:73], v81, v41, v[70:73]
	v_frexp_mant_f32_e32 v78, v128
	v_rcp_f32_e32 v131, v78
	v_frexp_exp_i32_f32_e32 v128, v128
	v_mfma_f32_16x16x4_f32 v[78:81], v81, v25, v[90:93]
	v_frexp_mant_f32_e32 v91, v129
	v_rcp_f32_e32 v91, v91
	v_frexp_exp_i32_f32_e32 v92, v129
	v_sub_u32_e32 v92, 0, v92
	v_sub_u32_e32 v90, 0, v128
	v_ldexp_f32 v91, v91, v92
	s_waitcnt vmcnt(1)
	v_pk_add_f32 v[92:93], v[116:117], v[124:125]
	v_mfma_f32_16x16x4_f32 v[70:73], v66, v2, v[70:73]
	s_waitcnt vmcnt(0)
	v_add_f32_e64 v92, v92, v126
	v_add_f32_e64 v93, v93, v127
	v_ldexp_f32 v90, v131, v90
	v_mul_f32_e64 v90, v114, v90
	v_mul_f32_e64 v91, v115, v91
	v_mfma_f32_16x16x4_f32 v[78:81], v66, v18, v[78:81]
	v_mul_f32_e32 v66, 0x3d92220c, v92
	v_fma_f32 v66, -v92, v66, s8
	v_mul_f32_e32 v124, v92, v66
	v_mul_f32_e32 v66, 0x3fb8aa3b, v124
	v_rndne_f32_e32 v114, v66
	v_cmp_ngt_f32_e32 vcc, s10, v124
	v_mfma_f32_16x16x4_f32 v[70:73], v67, v3, v[70:73]
	v_mfma_f32_16x16x4_f32 v[78:81], v67, v19, v[78:81]
	v_fma_f32 v67, v124, s9, -v66
	v_fmac_f32_e32 v67, 0x32a5705f, v124
	v_sub_f32_e32 v66, v66, v114
	v_add_f32_e32 v66, v66, v67
	v_exp_f32_e32 v66, v66
	v_cvt_i32_f32_e32 v67, v114
	v_mfma_f32_16x16x4_f32 v[70:73], v68, v4, v[70:73]
	v_mfma_f32_16x16x4_f32 v[78:81], v68, v20, v[78:81]
	v_add_u32_e32 v68, 0xffffff80, v130
	buffer_store_dwordx2 v[90:91], v68, s[0:3], 0 offen
	v_ldexp_f32 v90, v66, v67
	v_mul_f32_e32 v66, 0x3d92220c, v93
	v_fma_f32 v66, -v93, v66, s8
	v_mul_f32_e32 v91, v93, v66
	v_mul_f32_e32 v66, 0x3fb8aa3b, v91
	v_fma_f32 v67, v91, s9, -v66
	v_rndne_f32_e32 v68, v66
	v_fmac_f32_e32 v67, 0x32a5705f, v91
	v_sub_f32_e32 v66, v66, v68
	v_add_f32_e32 v66, v66, v67
	v_mfma_f32_16x16x4_f32 v[114:117], v69, v21, v[78:81]
	v_exp_f32_e32 v79, v66
	v_cvt_i32_f32_e32 v80, v68
	v_cndmask_b32_e32 v78, 0, v90, vcc
	v_cmp_nlt_f32_e32 vcc, s11, v124
	v_ldexp_f32 v79, v79, v80
	s_nop 0
	v_cndmask_b32_e32 v78, v119, v78, vcc
	v_cmp_ngt_f32_e32 vcc, s10, v91
	v_mfma_f32_16x16x4_f32 v[70:73], v69, v5, v[70:73]
	s_nop 0
	v_cndmask_b32_e32 v79, 0, v79, vcc
	v_cmp_nlt_f32_e32 vcc, s11, v91
	s_nop 1
	v_cndmask_b32_e32 v79, v119, v79, vcc
	v_add_f32_e64 v78, v78, 1.0
	v_add_f32_e64 v79, v79, 1.0
	v_mfma_f32_16x16x4_f32 v[66:69], v58, v38, 0
	v_frexp_mant_f32_e32 v80, v78
	v_frexp_mant_f32_e32 v81, v79
	v_rcp_f32_e32 v80, v80
	v_rcp_f32_e32 v81, v81
	v_frexp_exp_i32_f32_e32 v78, v78
	v_frexp_exp_i32_f32_e32 v79, v79
	v_sub_u32_e32 v78, 0, v78
	v_sub_u32_e32 v79, 0, v79
	v_ldexp_f32 v78, v80, v78
	v_ldexp_f32 v79, v81, v79
	v_pk_mul_f32 v[78:79], v[92:93], v[78:79]
	v_add_u32_e32 v80, 0xffffff88, v130
	buffer_store_dwordx2 v[78:79], v80, s[0:3], 0 offen
	v_add_u32_e32 v78, 0xffffff00, v1
	v_add_u32_e32 v1, 0xffffff08, v1
	s_waitcnt lgkmcnt(0)
	s_barrier
	ds_write2_b32 v121, v82, v83 offset1:32
	ds_write2_b32 v121, v84, v85 offset0:64 offset1:96
	s_waitcnt lgkmcnt(0)
	s_barrier
	buffer_load_dwordx2 v[82:83], v78, s[12:15], 0 offen
	buffer_load_dwordx2 v[124:125], v1, s[12:15], 0 offen
	v_add_u32_e32 v78, 0xffffff00, v123
	buffer_load_dwordx2 v[84:85], v78, s[4:7], 0 offen
	v_mfma_f32_16x16x4_f32 v[66:69], v59, v39, v[66:69]
	v_add_u32_e32 v1, 0xffffff08, v123
	buffer_load_dwordx2 v[126:127], v1, s[4:7], 0 offen
	ds_read_b128 v[78:81], v122
	s_waitcnt vmcnt(3) lgkmcnt(0)
	v_add_f32_e64 v78, v78, v82
	v_add_f32_e64 v79, v79, v83
	v_mfma_f32_16x16x4_f32 v[66:69], v60, v40, v[66:69]
	s_waitcnt vmcnt(2)
	v_add_f32_e64 v80, v80, v124
	v_add_f32_e64 v81, v81, v125
	s_waitcnt vmcnt(1)
	v_add_f32_e64 v78, v78, v84
	v_add_f32_e64 v79, v79, v85
	s_waitcnt vmcnt(0)
	v_pk_add_f32 v[80:81], v[80:81], v[126:127]
	v_mul_f32_e32 v1, 0x3d92220c, v78
	v_fma_f32 v1, -v78, v1, s8
	v_mfma_f32_16x16x4_f32 v[66:69], v61, v41, v[66:69]
	v_mul_f32_e32 v1, v78, v1
	v_mul_f32_e32 v82, 0x3fb8aa3b, v1
	v_fma_f32 v83, v1, s9, -v82
	v_rndne_f32_e32 v84, v82
	v_fmac_f32_e32 v83, 0x32a5705f, v1
	v_sub_f32_e32 v82, v82, v84
	v_add_f32_e32 v82, v82, v83
	v_mfma_f32_16x16x4_f32 v[66:69], v50, v2, v[66:69]
	v_cmp_ngt_f32_e32 vcc, s10, v1
	v_mfma_f32_16x16x4_f32 v[66:69], v51, v3, v[66:69]
	v_mfma_f32_16x16x4_f32 v[66:69], v52, v4, v[66:69]
	;; [unrolled: 1-line block ×3, first 2 shown]
	s_nop 8
	v_exp_f32_e32 v66, v82
	v_cvt_i32_f32_e32 v67, v84
	v_ldexp_f32 v82, v66, v67
	v_mul_f32_e32 v66, 0x3d92220c, v79
	v_fma_f32 v83, -v79, v66, s8
	v_mfma_f32_16x16x4_f32 v[66:69], v58, v34, 0
	v_mul_f32_e32 v83, v79, v83
	v_mul_f32_e32 v84, 0x3fb8aa3b, v83
	v_fma_f32 v85, v83, s9, -v84
	v_rndne_f32_e32 v123, v84
	v_fmac_f32_e32 v85, 0x32a5705f, v83
	v_sub_f32_e32 v84, v84, v123
	v_add_f32_e32 v84, v84, v85
	v_mfma_f32_16x16x4_f32 v[66:69], v59, v35, v[66:69]
	v_exp_f32_e32 v84, v84
	v_cvt_i32_f32_e32 v85, v123
	v_cndmask_b32_e32 v82, 0, v82, vcc
	v_cmp_nlt_f32_e32 vcc, s11, v1
	v_ldexp_f32 v1, v84, v85
	s_nop 0
	v_cndmask_b32_e32 v82, v119, v82, vcc
	v_mfma_f32_16x16x4_f32 v[66:69], v60, v36, v[66:69]
	v_cmp_ngt_f32_e32 vcc, s10, v83
	s_nop 1
	v_cndmask_b32_e32 v1, 0, v1, vcc
	v_cmp_nlt_f32_e32 vcc, s11, v83
	v_mfma_f32_16x16x4_f32 v[66:69], v61, v37, v[66:69]
	s_nop 0
	v_cndmask_b32_e32 v83, v119, v1, vcc
	v_add_f32_e64 v82, v82, 1.0
	v_add_f32_e64 v83, v83, 1.0
	v_frexp_mant_f32_e32 v1, v82
	v_rcp_f32_e32 v1, v1
	v_frexp_mant_f32_e32 v84, v83
	v_frexp_exp_i32_f32_e32 v82, v82
	v_mfma_f32_16x16x4_f32 v[66:69], v50, v6, v[66:69]
	v_rcp_f32_e32 v84, v84
	v_sub_u32_e32 v82, 0, v82
	v_ldexp_f32 v82, v1, v82
	v_frexp_exp_i32_f32_e32 v1, v83
	v_sub_u32_e32 v1, 0, v1
	v_ldexp_f32 v83, v84, v1
	v_mul_f32_e32 v1, 0x3d92220c, v80
	v_mfma_f32_16x16x4_f32 v[66:69], v51, v7, v[66:69]
	v_fma_f32 v1, -v80, v1, s8
	v_mul_f32_e32 v1, v80, v1
	v_mul_f32_e64 v78, v78, v82
	v_mul_f32_e64 v79, v79, v83
	v_mul_f32_e32 v82, 0x3fb8aa3b, v1
	v_fma_f32 v83, v1, s9, -v82
	v_rndne_f32_e32 v84, v82
	v_fmac_f32_e32 v83, 0x32a5705f, v1
	v_mfma_f32_16x16x4_f32 v[66:69], v52, v8, v[66:69]
	v_sub_f32_e32 v82, v82, v84
	v_add_f32_e32 v82, v82, v83
	v_cvt_i32_f32_e32 v83, v84
	v_add_u32_e32 v84, 0xffffff00, v130
	v_exp_f32_e32 v82, v82
	buffer_store_dwordx2 v[78:79], v84, s[0:3], 0 offen
	v_mul_f32_e32 v79, 0x3d92220c, v81
	v_fma_f32 v79, -v81, v79, s8
	v_mul_f32_e32 v79, v81, v79
	v_mul_f32_e32 v123, 0x3fb8aa3b, v79
	v_ldexp_f32 v78, v82, v83
	v_mfma_f32_16x16x4_f32 v[82:85], v53, v9, v[66:69]
	v_fma_f32 v66, v79, s9, -v123
	v_rndne_f32_e32 v67, v123
	v_fmac_f32_e32 v66, 0x32a5705f, v79
	v_sub_f32_e32 v68, v123, v67
	v_add_f32_e32 v66, v68, v66
	v_exp_f32_e32 v123, v66
	v_cvt_i32_f32_e32 v124, v67
	v_cmp_ngt_f32_e32 vcc, s10, v1
	v_mfma_f32_16x16x4_f32 v[66:69], v58, v30, 0
	s_nop 0
	v_cndmask_b32_e32 v78, 0, v78, vcc
	v_cmp_nlt_f32_e32 vcc, s11, v1
	v_ldexp_f32 v1, v123, v124
	s_nop 0
	v_cndmask_b32_e32 v78, v119, v78, vcc
	v_cmp_ngt_f32_e32 vcc, s10, v79
	v_mfma_f32_16x16x4_f32 v[66:69], v59, v31, v[66:69]
	s_nop 0
	v_cndmask_b32_e32 v1, 0, v1, vcc
	v_cmp_nlt_f32_e32 vcc, s11, v79
	s_nop 1
	v_cndmask_b32_e32 v79, v119, v1, vcc
	v_add_f32_e64 v78, v78, 1.0
	v_add_f32_e64 v79, v79, 1.0
	v_mfma_f32_16x16x4_f32 v[66:69], v60, v32, v[66:69]
	v_frexp_mant_f32_e32 v1, v78
	v_rcp_f32_e32 v1, v1
	v_frexp_mant_f32_e32 v123, v79
	v_frexp_exp_i32_f32_e32 v78, v78
	v_rcp_f32_e32 v123, v123
	v_sub_u32_e32 v78, 0, v78
	v_ldexp_f32 v78, v1, v78
	v_frexp_exp_i32_f32_e32 v1, v79
	v_sub_u32_e32 v1, 0, v1
	v_ldexp_f32 v79, v123, v1
	v_pk_mul_f32 v[78:79], v[80:81], v[78:79]
	v_add_u32_e32 v1, 0xffffff08, v130
	buffer_store_dwordx2 v[78:79], v1, s[0:3], 0 offen
	v_lshlrev_b32_e32 v1, 2, v118
	s_waitcnt lgkmcnt(0)
	s_barrier
	ds_write2_b32 v121, v74, v75 offset1:32
	ds_write2_b32 v121, v76, v77 offset0:64 offset1:96
	s_waitcnt lgkmcnt(0)
	s_barrier
	buffer_load_dwordx4 v[74:77], v1, s[12:15], 0 offen
	v_lshlrev_b32_e32 v1, 2, v120
	buffer_load_dwordx4 v[124:127], v1, s[4:7], 0 offen
	v_mfma_f32_16x16x4_f32 v[66:69], v61, v33, v[66:69]
	ds_read_b128 v[128:131], v122
	s_waitcnt vmcnt(1) lgkmcnt(0)
	v_add_f32_e64 v74, v128, v74
	v_add_f32_e64 v75, v129, v75
	v_mfma_f32_16x16x4_f32 v[66:69], v50, v14, v[66:69]
	s_waitcnt vmcnt(0)
	v_add_f32_e64 v74, v74, v124
	v_add_f32_e64 v75, v75, v125
	v_mul_f32_e32 v1, 0x3d92220c, v74
	v_fma_f32 v1, -v74, v1, s8
	v_mul_f32_e32 v1, v74, v1
	v_mul_f32_e32 v78, 0x3fb8aa3b, v1
	v_fma_f32 v79, v1, s9, -v78
	v_mfma_f32_16x16x4_f32 v[66:69], v51, v15, v[66:69]
	v_rndne_f32_e32 v80, v78
	v_fmac_f32_e32 v79, 0x32a5705f, v1
	v_sub_f32_e32 v78, v78, v80
	v_add_f32_e32 v78, v78, v79
	v_exp_f32_e32 v123, v78
	v_cvt_i32_f32_e32 v124, v80
	v_cmp_ngt_f32_e32 vcc, s10, v1
	v_mfma_f32_16x16x4_f32 v[66:69], v52, v16, v[66:69]
	v_mfma_f32_16x16x4_f32 v[78:81], v53, v17, v[66:69]
	s_nop 8
	v_ldexp_f32 v66, v123, v124
	v_cndmask_b32_e32 v123, 0, v66, vcc
	v_mul_f32_e32 v66, 0x3d92220c, v75
	v_fma_f32 v66, -v75, v66, s8
	v_mul_f32_e32 v124, v75, v66
	v_mul_f32_e32 v125, 0x3fb8aa3b, v124
	v_rndne_f32_e32 v128, v125
	v_mfma_f32_16x16x4_f32 v[66:69], v58, v22, 0
	v_fma_f32 v58, v124, s9, -v125
	v_fmac_f32_e32 v58, 0x32a5705f, v124
	v_sub_f32_e32 v125, v125, v128
	v_add_f32_e32 v58, v125, v58
	v_exp_f32_e32 v125, v58
	v_cvt_i32_f32_e32 v128, v128
	v_cmp_nlt_f32_e32 vcc, s11, v1
	v_mfma_f32_16x16x4_f32 v[66:69], v59, v23, v[66:69]
	v_ldexp_f32 v1, v125, v128
	v_cndmask_b32_e32 v58, v119, v123, vcc
	v_cmp_ngt_f32_e32 vcc, s10, v124
	v_add_u32_e32 v123, s16, v0
	s_nop 0
	v_cndmask_b32_e32 v1, 0, v1, vcc
	v_mfma_f32_16x16x4_f32 v[66:69], v60, v24, v[66:69]
	v_cmp_nlt_f32_e32 vcc, s11, v124
	s_nop 1
	v_cndmask_b32_e32 v59, v119, v1, vcc
	v_add_f32_e64 v124, v58, 1.0
	v_add_f32_e64 v125, v59, 1.0
	v_frexp_mant_f32_e32 v1, v124
	v_mfma_f32_16x16x4_f32 v[58:61], v61, v25, v[66:69]
	s_nop 1
	v_add_f32_e64 v66, v130, v76
	v_add_f32_e64 v67, v131, v77
	v_rcp_f32_e32 v1, v1
	v_pk_add_f32 v[66:67], v[66:67], v[126:127]
	v_frexp_exp_i32_f32_e32 v0, v124
	v_mul_f32_e32 v69, 0x3d92220c, v66
	v_fma_f32 v69, -v66, v69, s8
	v_sub_u32_e32 v0, 0, v0
	v_mfma_f32_16x16x4_f32 v[58:61], v50, v18, v[58:61]
	v_mul_f32_e32 v69, v66, v69
	v_ldexp_f32 v0, v1, v0
	v_frexp_mant_f32_e32 v1, v125
	v_mul_f32_e32 v50, 0x3fb8aa3b, v69
	v_rcp_f32_e32 v1, v1
	v_fma_f32 v76, v69, s9, -v50
	v_rndne_f32_e32 v77, v50
	v_mfma_f32_16x16x4_f32 v[58:61], v51, v19, v[58:61]
	v_fmac_f32_e32 v76, 0x32a5705f, v69
	v_sub_f32_e32 v50, v50, v77
	v_frexp_exp_i32_f32_e32 v68, v125
	v_add_f32_e32 v50, v50, v76
	v_exp_f32_e32 v76, v50
	v_sub_u32_e32 v50, 0, v68
	v_ldexp_f32 v1, v1, v50
	v_mfma_f32_16x16x4_f32 v[58:61], v52, v20, v[58:61]
	v_cvt_i32_f32_e32 v77, v77
	v_mul_f32_e64 v50, v74, v0
	v_mul_f32_e64 v51, v75, v1
	v_mul_f32_e32 v1, 0x3d92220c, v67
	v_fma_f32 v1, -v67, v1, s8
	v_mul_f32_e32 v1, v67, v1
	v_mul_f32_e32 v52, 0x3fb8aa3b, v1
	v_ldexp_f32 v0, v76, v77
	v_fma_f32 v68, v1, s9, -v52
	v_rndne_f32_e32 v124, v52
	v_mfma_f32_16x16x4_f32 v[74:77], v53, v21, v[58:61]
	v_fmac_f32_e32 v68, 0x32a5705f, v1
	v_sub_f32_e32 v52, v52, v124
	v_add_f32_e32 v52, v52, v68
	v_exp_f32_e32 v52, v52
	v_cvt_i32_f32_e32 v53, v124
	v_cmp_ngt_f32_e32 vcc, s10, v69
	v_lshlrev_b32_e32 v68, 2, v123
	v_mfma_f32_16x16x4_f32 v[58:61], v62, v38, 0
	v_cndmask_b32_e32 v0, 0, v0, vcc
	v_cmp_nlt_f32_e32 vcc, s11, v69
	v_ldexp_f32 v52, v52, v53
	s_nop 0
	v_cndmask_b32_e32 v0, v119, v0, vcc
	v_cmp_ngt_f32_e32 vcc, s10, v1
	v_mfma_f32_16x16x4_f32 v[58:61], v63, v39, v[58:61]
	s_nop 0
	v_cndmask_b32_e32 v52, 0, v52, vcc
	v_cmp_nlt_f32_e32 vcc, s11, v1
	s_nop 1
	v_cndmask_b32_e32 v1, v119, v52, vcc
	v_add_f32_e64 v0, v0, 1.0
	v_add_f32_e64 v1, v1, 1.0
	v_frexp_mant_f32_e32 v52, v0
	v_rcp_f32_e32 v52, v52
	v_frexp_exp_i32_f32_e32 v0, v0
	v_sub_u32_e32 v0, 0, v0
	v_mfma_f32_16x16x4_f32 v[58:61], v64, v40, v[58:61]
	v_ldexp_f32 v0, v52, v0
	v_frexp_mant_f32_e32 v52, v1
	v_rcp_f32_e32 v52, v52
	v_frexp_exp_i32_f32_e32 v1, v1
	v_sub_u32_e32 v1, 0, v1
	v_ldexp_f32 v1, v52, v1
	v_pk_mul_f32 v[52:53], v[66:67], v[0:1]
	v_add_u32_e32 v1, s18, v118
	v_add_u32_e32 v118, s17, v120
	v_lshlrev_b32_e32 v120, 2, v1
	buffer_store_dwordx4 v[50:53], v68, s[0:3], 0 offen
	s_waitcnt lgkmcnt(0)
	s_barrier
	v_mfma_f32_16x16x4_f32 v[50:53], v65, v41, v[58:61]
	ds_write2_b32 v121, v110, v111 offset1:32
	ds_write2_b32 v121, v112, v113 offset0:64 offset1:96
	s_waitcnt lgkmcnt(0)
	s_barrier
	buffer_load_dwordx4 v[58:61], v120, s[12:15], 0 offen
	v_lshlrev_b32_e32 v136, 2, v118
	buffer_load_dwordx4 v[66:69], v136, s[4:7], 0 offen
	ds_read_b128 v[110:113], v122
	v_mfma_f32_16x16x4_f32 v[124:127], v62, v34, 0
	s_waitcnt vmcnt(1) lgkmcnt(0)
	v_add_f32_e64 v58, v110, v58
	v_add_f32_e64 v59, v111, v59
	v_mfma_f32_16x16x4_f32 v[124:127], v63, v35, v[124:127]
	s_waitcnt vmcnt(0)
	v_add_f32_e64 v66, v58, v66
	v_add_f32_e64 v67, v59, v67
	v_mul_f32_e32 v0, 0x3d92220c, v66
	v_fma_f32 v0, -v66, v0, s8
	v_mul_f32_e32 v58, v66, v0
	v_mul_f32_e32 v0, 0x3fb8aa3b, v58
	v_fma_f32 v59, v58, s9, -v0
	v_rndne_f32_e32 v110, v0
	v_fmac_f32_e32 v59, 0x32a5705f, v58
	v_sub_f32_e32 v0, v0, v110
	v_add_f32_e32 v0, v0, v59
	v_exp_f32_e32 v59, v0
	v_cvt_i32_f32_e32 v110, v110
	v_add_u32_e32 v0, s16, v123
	v_cmp_ngt_f32_e32 vcc, s10, v58
	v_mfma_f32_16x16x4_f32 v[124:127], v64, v36, v[124:127]
	v_ldexp_f32 v59, v59, v110
	v_mul_f32_e32 v110, 0x3d92220c, v67
	v_fma_f32 v110, -v67, v110, s8
	v_mul_f32_e32 v110, v67, v110
	v_mul_f32_e32 v111, 0x3fb8aa3b, v110
	v_fma_f32 v123, v110, s9, -v111
	v_rndne_f32_e32 v128, v111
	v_fmac_f32_e32 v123, 0x32a5705f, v110
	v_sub_f32_e32 v111, v111, v128
	v_add_f32_e32 v111, v111, v123
	v_exp_f32_e32 v111, v111
	v_cvt_i32_f32_e32 v123, v128
	v_cndmask_b32_e32 v59, 0, v59, vcc
	v_cmp_nlt_f32_e32 vcc, s11, v58
	v_mfma_f32_16x16x4_f32 v[124:127], v65, v37, v[124:127]
	s_nop 0
	v_cndmask_b32_e32 v58, v119, v59, vcc
	v_ldexp_f32 v59, v111, v123
	v_cmp_ngt_f32_e32 vcc, s10, v110
	s_nop 1
	v_cndmask_b32_e32 v59, 0, v59, vcc
	v_cmp_nlt_f32_e32 vcc, s11, v110
	v_mfma_f32_16x16x4_f32 v[132:135], v62, v22, 0
	s_nop 0
	v_cndmask_b32_e32 v59, v119, v59, vcc
	v_add_f32_e64 v58, v58, 1.0
	v_add_f32_e64 v59, v59, 1.0
	v_frexp_mant_f32_e32 v110, v58
	v_rcp_f32_e32 v110, v110
	v_frexp_exp_i32_f32_e32 v58, v58
	v_sub_u32_e32 v58, 0, v58
	v_mfma_f32_16x16x4_f32 v[132:135], v63, v23, v[132:135]
	v_ldexp_f32 v110, v110, v58
	v_frexp_mant_f32_e32 v58, v59
	v_rcp_f32_e32 v58, v58
	v_frexp_exp_i32_f32_e32 v59, v59
	v_sub_u32_e32 v59, 0, v59
	v_ldexp_f32 v111, v58, v59
	v_pk_add_f32 v[58:59], v[112:113], v[60:61]
	v_pk_mul_f32 v[66:67], v[66:67], v[110:111]
	v_pk_add_f32 v[68:69], v[58:59], v[68:69]
	v_lshlrev_b32_e32 v110, 2, v0
	v_mul_f32_e32 v58, 0x3d92220c, v68
	v_fma_f32 v58, -v68, v58, s8
	v_mul_f32_e32 v112, v68, v58
	v_mul_f32_e32 v113, 0x3fb8aa3b, v112
	v_mfma_f32_16x16x4_f32 v[58:61], v54, v6, v[124:127]
	v_fma_f32 v123, v112, s9, -v113
	v_rndne_f32_e32 v124, v113
	v_fmac_f32_e32 v123, 0x32a5705f, v112
	v_sub_f32_e32 v113, v113, v124
	v_add_f32_e32 v113, v113, v123
	v_exp_f32_e32 v113, v113
	v_cvt_i32_f32_e32 v123, v124
	v_cmp_ngt_f32_e32 vcc, s10, v112
	v_mfma_f32_16x16x4_f32 v[50:53], v54, v2, v[50:53]
	v_ldexp_f32 v111, v113, v123
	v_mul_f32_e32 v113, 0x3d92220c, v69
	v_fma_f32 v113, -v69, v113, s8
	v_mul_f32_e32 v113, v69, v113
	v_mul_f32_e32 v123, 0x3fb8aa3b, v113
	v_fma_f32 v124, v113, s9, -v123
	v_rndne_f32_e32 v125, v123
	v_fmac_f32_e32 v124, 0x32a5705f, v113
	v_sub_f32_e32 v123, v123, v125
	v_add_f32_e32 v123, v123, v124
	v_exp_f32_e32 v123, v123
	v_cvt_i32_f32_e32 v124, v125
	v_cndmask_b32_e32 v111, 0, v111, vcc
	v_cmp_nlt_f32_e32 vcc, s11, v112
	v_mfma_f32_16x16x4_f32 v[50:53], v55, v3, v[50:53]
	s_nop 0
	v_cndmask_b32_e32 v112, v119, v111, vcc
	v_ldexp_f32 v111, v123, v124
	v_cmp_ngt_f32_e32 vcc, s10, v113
	s_nop 1
	v_cndmask_b32_e32 v111, 0, v111, vcc
	v_mfma_f32_16x16x4_f32 v[124:127], v62, v30, 0
	v_cmp_nlt_f32_e32 vcc, s11, v113
	s_nop 1
	v_cndmask_b32_e32 v113, v119, v111, vcc
	v_add_f32_e64 v112, v112, 1.0
	v_add_f32_e64 v113, v113, 1.0
	v_frexp_mant_f32_e32 v111, v112
	v_rcp_f32_e32 v111, v111
	v_mfma_f32_16x16x4_f32 v[124:127], v63, v31, v[124:127]
	v_frexp_mant_f32_e32 v123, v113
	v_frexp_exp_i32_f32_e32 v112, v112
	v_rcp_f32_e32 v123, v123
	v_sub_u32_e32 v112, 0, v112
	v_ldexp_f32 v112, v111, v112
	v_frexp_exp_i32_f32_e32 v111, v113
	v_sub_u32_e32 v111, 0, v111
	v_ldexp_f32 v113, v123, v111
	v_pk_mul_f32 v[68:69], v[68:69], v[112:113]
	buffer_store_dwordx4 v[66:69], v110, s[0:3], 0 offen
	s_waitcnt lgkmcnt(0)
	s_barrier
	v_mfma_f32_16x16x4_f32 v[66:69], v64, v32, v[124:127]
	ds_write2_b32 v121, v86, v87 offset1:32
	ds_write2_b32 v121, v88, v89 offset0:64 offset1:96
	s_waitcnt lgkmcnt(0)
	s_barrier
	buffer_load_dwordx4 v[86:89], v120, s[12:15], 0 offen offset:128
	buffer_load_dwordx4 v[124:127], v136, s[4:7], 0 offen offset:128
	ds_read_b128 v[128:131], v122
	s_waitcnt vmcnt(1) lgkmcnt(0)
	v_pk_add_f32 v[86:87], v[128:129], v[86:87]
	s_waitcnt vmcnt(0)
	v_pk_add_f32 v[112:113], v[86:87], v[124:125]
	v_mfma_f32_16x16x4_f32 v[66:69], v65, v33, v[66:69]
	v_mul_f32_e32 v86, 0x3d92220c, v112
	v_fma_f32 v86, -v112, v86, s8
	v_mul_f32_e32 v86, v112, v86
	v_mul_f32_e32 v87, 0x3fb8aa3b, v86
	v_fma_f32 v111, v86, s9, -v87
	v_rndne_f32_e32 v123, v87
	v_fmac_f32_e32 v111, 0x32a5705f, v86
	v_sub_f32_e32 v87, v87, v123
	v_add_f32_e32 v87, v87, v111
	v_exp_f32_e32 v87, v87
	v_cvt_i32_f32_e32 v111, v123
	v_cmp_ngt_f32_e32 vcc, s10, v86
	v_mfma_f32_16x16x4_f32 v[66:69], v54, v14, v[66:69]
	v_ldexp_f32 v87, v87, v111
	v_mul_f32_e32 v111, 0x3d92220c, v113
	v_fma_f32 v111, -v113, v111, s8
	v_mul_f32_e32 v111, v113, v111
	v_mul_f32_e32 v123, 0x3fb8aa3b, v111
	v_fma_f32 v124, v111, s9, -v123
	v_rndne_f32_e32 v125, v123
	v_fmac_f32_e32 v124, 0x32a5705f, v111
	v_sub_f32_e32 v123, v123, v125
	v_add_f32_e32 v123, v123, v124
	v_exp_f32_e32 v123, v123
	v_cvt_i32_f32_e32 v124, v125
	v_cndmask_b32_e32 v87, 0, v87, vcc
	v_cmp_nlt_f32_e32 vcc, s11, v86
	v_mfma_f32_16x16x4_f32 v[58:61], v55, v7, v[58:61]
	s_nop 0
	v_cndmask_b32_e32 v86, v119, v87, vcc
	v_ldexp_f32 v87, v123, v124
	v_cmp_ngt_f32_e32 vcc, s10, v111
	s_nop 1
	v_cndmask_b32_e32 v87, 0, v87, vcc
	v_cmp_nlt_f32_e32 vcc, s11, v111
	v_mfma_f32_16x16x4_f32 v[66:69], v55, v15, v[66:69]
	s_nop 0
	v_cndmask_b32_e32 v87, v119, v87, vcc
	v_add_f32_e64 v124, v86, 1.0
	v_add_f32_e64 v125, v87, 1.0
	v_frexp_mant_f32_e32 v62, v124
	v_rcp_f32_e32 v62, v62
	v_frexp_exp_i32_f32_e32 v86, v124
	v_sub_u32_e32 v86, 0, v86
	v_mfma_f32_16x16x4_f32 v[50:53], v56, v4, v[50:53]
	v_ldexp_f32 v124, v62, v86
	v_frexp_mant_f32_e32 v62, v125
	v_rcp_f32_e32 v111, v62
	v_pk_add_f32 v[62:63], v[130:131], v[88:89]
	s_nop 0
	v_pk_add_f32 v[126:127], v[62:63], v[126:127]
	v_mfma_f32_16x16x4_f32 v[86:89], v64, v24, v[132:135]
	v_mul_f32_e32 v62, 0x3d92220c, v126
	v_fma_f32 v62, -v126, v62, s8
	v_mul_f32_e32 v123, v126, v62
	v_mul_f32_e32 v62, 0x3fb8aa3b, v123
	v_fma_f32 v63, v123, s9, -v62
	v_rndne_f32_e32 v128, v62
	v_fmac_f32_e32 v63, 0x32a5705f, v123
	v_sub_f32_e32 v62, v62, v128
	v_add_f32_e32 v62, v62, v63
	v_exp_f32_e32 v129, v62
	v_mfma_f32_16x16x4_f32 v[62:65], v65, v25, v[86:89]
	v_frexp_exp_i32_f32_e32 v87, v125
	v_sub_u32_e32 v87, 0, v87
	v_ldexp_f32 v125, v111, v87
	v_mul_f32_e32 v87, 0x3d92220c, v127
	v_fma_f32 v87, -v127, v87, s8
	v_mul_f32_e32 v87, v127, v87
	v_cvt_i32_f32_e32 v86, v128
	v_mfma_f32_16x16x4_f32 v[62:65], v54, v18, v[62:65]
	v_mul_f32_e32 v54, 0x3fb8aa3b, v87
	v_fma_f32 v88, v87, s9, -v54
	v_rndne_f32_e32 v89, v54
	v_fmac_f32_e32 v88, 0x32a5705f, v87
	v_sub_f32_e32 v54, v54, v89
	v_add_f32_e32 v54, v54, v88
	v_cvt_i32_f32_e32 v88, v89
	v_mfma_f32_16x16x4_f32 v[62:65], v55, v19, v[62:65]
	v_exp_f32_e32 v55, v54
	v_ldexp_f32 v86, v129, v86
	v_cmp_ngt_f32_e32 vcc, s10, v123
	v_ldexp_f32 v55, v55, v88
	s_nop 0
	v_cndmask_b32_e32 v54, 0, v86, vcc
	v_cmp_nlt_f32_e32 vcc, s11, v123
	v_mfma_f32_16x16x4_f32 v[58:61], v56, v8, v[58:61]
	s_nop 0
	v_cndmask_b32_e32 v54, v119, v54, vcc
	v_cmp_ngt_f32_e32 vcc, s10, v87
	s_nop 1
	v_cndmask_b32_e32 v55, 0, v55, vcc
	v_cmp_nlt_f32_e32 vcc, s11, v87
	v_mfma_f32_16x16x4_f32 v[66:69], v56, v16, v[66:69]
	s_nop 0
	v_cndmask_b32_e32 v55, v119, v55, vcc
	v_add_f32_e64 v128, v54, 1.0
	v_add_f32_e64 v129, v55, 1.0
	v_frexp_mant_f32_e32 v54, v128
	v_frexp_exp_i32_f32_e32 v111, v129
	v_sub_u32_e32 v111, 0, v111
	v_mfma_f32_16x16x4_f32 v[62:65], v56, v20, v[62:65]
	v_rcp_f32_e32 v56, v54
	v_pk_mul_f32 v[54:55], v[112:113], v[124:125]
	v_mfma_f32_16x16x4_f32 v[50:53], v57, v5, v[50:53]
	v_mfma_f32_16x16x4_f32 v[58:61], v57, v9, v[58:61]
	;; [unrolled: 1-line block ×4, first 2 shown]
	v_frexp_exp_i32_f32_e32 v57, v128
	v_sub_u32_e32 v57, 0, v57
	v_ldexp_f32 v56, v56, v57
	v_frexp_mant_f32_e32 v57, v129
	v_rcp_f32_e32 v57, v57
	s_nop 0
	v_ldexp_f32 v57, v57, v111
	v_mfma_f32_16x16x4_f32 v[62:65], v46, v38, 0
	v_mul_f32_e64 v56, v126, v56
	v_mul_f32_e64 v57, v127, v57
	buffer_store_dwordx4 v[54:57], v110, s[0:3], 0 offen offset:128
	s_waitcnt lgkmcnt(0)
	s_barrier
	ds_write2_b32 v121, v106, v107 offset1:32
	ds_write2_b32 v121, v108, v109 offset0:64 offset1:96
	s_waitcnt lgkmcnt(0)
	s_barrier
	buffer_load_dwordx4 v[106:109], v120, s[12:15], 0 offen offset:256
	v_mfma_f32_16x16x4_f32 v[54:57], v47, v39, v[62:65]
	buffer_load_dwordx4 v[62:65], v136, s[4:7], 0 offen offset:256
	ds_read_b128 v[124:127], v122
	s_waitcnt vmcnt(1) lgkmcnt(0)
	v_add_f32_e64 v106, v124, v106
	v_add_f32_e64 v107, v125, v107
	v_pk_add_f32 v[108:109], v[126:127], v[108:109]
	s_waitcnt vmcnt(0)
	v_pk_add_f32 v[62:63], v[106:107], v[62:63]
	v_pk_add_f32 v[64:65], v[108:109], v[64:65]
	v_mul_f32_e32 v106, 0x3d92220c, v62
	v_fma_f32 v106, -v62, v106, s8
	v_mul_f32_e32 v106, v62, v106
	v_mul_f32_e32 v107, 0x3fb8aa3b, v106
	v_fma_f32 v111, v106, s9, -v107
	v_rndne_f32_e32 v112, v107
	v_fmac_f32_e32 v111, 0x32a5705f, v106
	v_sub_f32_e32 v107, v107, v112
	v_add_f32_e32 v107, v107, v111
	v_exp_f32_e32 v107, v107
	v_cvt_i32_f32_e32 v111, v112
	v_cmp_ngt_f32_e32 vcc, s10, v106
	v_mul_f32_e32 v108, 0x3d92220c, v64
	v_fma_f32 v108, -v64, v108, s8
	v_ldexp_f32 v107, v107, v111
	v_mul_f32_e32 v111, 0x3d92220c, v63
	v_fma_f32 v111, -v63, v111, s8
	v_mul_f32_e32 v111, v63, v111
	v_mul_f32_e32 v112, 0x3fb8aa3b, v111
	v_fma_f32 v113, v111, s9, -v112
	v_rndne_f32_e32 v123, v112
	v_fmac_f32_e32 v113, 0x32a5705f, v111
	v_sub_f32_e32 v112, v112, v123
	v_add_f32_e32 v112, v112, v113
	v_exp_f32_e32 v112, v112
	v_cvt_i32_f32_e32 v113, v123
	v_cndmask_b32_e32 v107, 0, v107, vcc
	v_cmp_nlt_f32_e32 vcc, s11, v106
	v_mul_f32_e32 v108, v64, v108
	v_mul_f32_e32 v109, 0x3fb8aa3b, v108
	v_cndmask_b32_e32 v106, v119, v107, vcc
	v_ldexp_f32 v107, v112, v113
	v_cmp_ngt_f32_e32 vcc, s10, v111
	v_fma_f32 v112, v108, s9, -v109
	v_rndne_f32_e32 v113, v109
	v_cndmask_b32_e32 v107, 0, v107, vcc
	v_cmp_nlt_f32_e32 vcc, s11, v111
	v_fmac_f32_e32 v112, 0x32a5705f, v108
	v_sub_f32_e32 v109, v109, v113
	v_cndmask_b32_e32 v107, v119, v107, vcc
	v_pk_add_f32 v[106:107], v[106:107], 1.0 op_sel_hi:[1,0]
	v_add_f32_e32 v109, v109, v112
	v_frexp_mant_f32_e32 v111, v106
	v_rcp_f32_e32 v111, v111
	v_frexp_exp_i32_f32_e32 v106, v106
	v_sub_u32_e32 v106, 0, v106
	v_exp_f32_e32 v109, v109
	v_ldexp_f32 v106, v111, v106
	v_frexp_mant_f32_e32 v111, v107
	v_rcp_f32_e32 v111, v111
	v_frexp_exp_i32_f32_e32 v107, v107
	v_sub_u32_e32 v107, 0, v107
	v_cvt_i32_f32_e32 v112, v113
	v_ldexp_f32 v107, v111, v107
	v_pk_mul_f32 v[62:63], v[62:63], v[106:107]
	v_mul_f32_e32 v107, 0x3d92220c, v65
	v_fma_f32 v107, -v65, v107, s8
	v_mul_f32_e32 v107, v65, v107
	v_ldexp_f32 v106, v109, v112
	v_mul_f32_e32 v109, 0x3fb8aa3b, v107
	v_fma_f32 v111, v107, s9, -v109
	v_rndne_f32_e32 v112, v109
	v_fmac_f32_e32 v111, 0x32a5705f, v107
	v_sub_f32_e32 v109, v109, v112
	v_add_f32_e32 v109, v109, v111
	v_exp_f32_e32 v109, v109
	v_cvt_i32_f32_e32 v111, v112
	v_cmp_ngt_f32_e32 vcc, s10, v108
	v_add_u32_e32 v123, 0x60, v118
	v_mfma_f32_16x16x4_f32 v[54:57], v48, v40, v[54:57]
	v_cndmask_b32_e32 v106, 0, v106, vcc
	v_cmp_nlt_f32_e32 vcc, s11, v108
	v_ldexp_f32 v108, v109, v111
	v_add_u32_e32 v111, 0x60, v1
	v_cndmask_b32_e32 v106, v119, v106, vcc
	v_cmp_ngt_f32_e32 vcc, s10, v107
	v_mfma_f32_16x16x4_f32 v[54:57], v49, v41, v[54:57]
	s_nop 0
	v_cndmask_b32_e32 v108, 0, v108, vcc
	v_cmp_nlt_f32_e32 vcc, s11, v107
	s_nop 1
	v_cndmask_b32_e32 v107, v119, v108, vcc
	v_add_f32_e64 v106, v106, 1.0
	v_add_f32_e64 v107, v107, 1.0
	v_frexp_mant_f32_e32 v108, v106
	v_frexp_mant_f32_e32 v109, v107
	v_rcp_f32_e32 v108, v108
	v_rcp_f32_e32 v109, v109
	v_frexp_exp_i32_f32_e32 v106, v106
	v_frexp_exp_i32_f32_e32 v107, v107
	v_sub_u32_e32 v106, 0, v106
	v_sub_u32_e32 v107, 0, v107
	v_ldexp_f32 v106, v108, v106
	v_ldexp_f32 v107, v109, v107
	v_pk_mul_f32 v[64:65], v[64:65], v[106:107]
	buffer_store_dwordx4 v[62:65], v110, s[0:3], 0 offen offset:256
	s_waitcnt lgkmcnt(0)
	s_barrier
	v_lshlrev_b32_e32 v62, 2, v111
	ds_write2_b32 v121, v102, v103 offset1:32
	ds_write2_b32 v121, v104, v105 offset0:64 offset1:96
	s_waitcnt lgkmcnt(0)
	s_barrier
	buffer_load_dwordx2 v[106:107], v62, s[12:15], 0 offen
	v_lshlrev_b32_e32 v62, 2, v123
	buffer_load_dwordx2 v[108:109], v62, s[4:7], 0 offen
	buffer_load_dwordx2 v[112:113], v120, s[12:15], 0 offen offset:392
	buffer_load_dwordx2 v[124:125], v136, s[4:7], 0 offen offset:392
	ds_read_b128 v[102:105], v122
	v_add_u32_e32 v120, 0x60, v0
	v_mfma_f32_16x16x4_f32 v[62:65], v46, v34, 0
	s_waitcnt vmcnt(3) lgkmcnt(0)
	v_add_f32_e64 v102, v102, v106
	v_add_f32_e64 v103, v103, v107
	v_mfma_f32_16x16x4_f32 v[62:65], v47, v35, v[62:65]
	s_waitcnt vmcnt(2)
	v_add_f32_e64 v102, v102, v108
	v_add_f32_e64 v103, v103, v109
	s_waitcnt vmcnt(1)
	v_add_f32_e64 v104, v104, v112
	v_add_f32_e64 v105, v105, v113
	v_mul_f32_e32 v106, 0x3d92220c, v102
	v_fma_f32 v106, -v102, v106, s8
	v_mul_f32_e32 v106, v102, v106
	v_mul_f32_e32 v107, 0x3fb8aa3b, v106
	v_fma_f32 v108, v106, s9, -v107
	v_rndne_f32_e32 v109, v107
	v_fmac_f32_e32 v108, 0x32a5705f, v106
	v_sub_f32_e32 v107, v107, v109
	v_add_f32_e32 v107, v107, v108
	v_exp_f32_e32 v107, v107
	v_cvt_i32_f32_e32 v108, v109
	v_cmp_ngt_f32_e32 vcc, s10, v106
	s_waitcnt vmcnt(0)
	v_pk_add_f32 v[104:105], v[104:105], v[124:125]
	v_mfma_f32_16x16x4_f32 v[62:65], v48, v36, v[62:65]
	v_ldexp_f32 v107, v107, v108
	v_mul_f32_e32 v108, 0x3d92220c, v103
	v_fma_f32 v108, -v103, v108, s8
	v_mul_f32_e32 v108, v103, v108
	v_mul_f32_e32 v109, 0x3fb8aa3b, v108
	v_fma_f32 v126, v108, s9, -v109
	v_rndne_f32_e32 v127, v109
	v_fmac_f32_e32 v126, 0x32a5705f, v108
	v_sub_f32_e32 v109, v109, v127
	v_add_f32_e32 v109, v109, v126
	v_exp_f32_e32 v109, v109
	v_cvt_i32_f32_e32 v126, v127
	v_cndmask_b32_e32 v107, 0, v107, vcc
	v_cmp_nlt_f32_e32 vcc, s11, v106
	v_mfma_f32_16x16x4_f32 v[62:65], v49, v37, v[62:65]
	s_nop 0
	v_cndmask_b32_e32 v106, v119, v107, vcc
	v_ldexp_f32 v107, v109, v126
	v_cmp_ngt_f32_e32 vcc, s10, v108
	s_nop 1
	v_cndmask_b32_e32 v107, 0, v107, vcc
	v_cmp_nlt_f32_e32 vcc, s11, v108
	v_mfma_f32_16x16x4_f32 v[54:57], v42, v2, v[54:57]
	s_nop 0
	v_cndmask_b32_e32 v107, v119, v107, vcc
	v_add_f32_e64 v106, v106, 1.0
	v_add_f32_e64 v107, v107, 1.0
	v_frexp_mant_f32_e32 v108, v106
	v_rcp_f32_e32 v108, v108
	v_frexp_exp_i32_f32_e32 v106, v106
	v_frexp_mant_f32_e32 v109, v107
	v_sub_u32_e32 v106, 0, v106
	v_rcp_f32_e32 v109, v109
	v_ldexp_f32 v106, v108, v106
	v_mul_f32_e32 v108, 0x3d92220c, v104
	v_frexp_exp_i32_f32_e32 v107, v107
	v_fma_f32 v108, -v104, v108, s8
	v_sub_u32_e32 v107, 0, v107
	v_mul_f32_e32 v108, v104, v108
	v_ldexp_f32 v107, v109, v107
	v_mul_f32_e32 v109, 0x3fb8aa3b, v108
	v_fma_f32 v112, v108, s9, -v109
	v_rndne_f32_e32 v113, v109
	v_fmac_f32_e32 v112, 0x32a5705f, v108
	v_sub_f32_e32 v109, v109, v113
	v_add_f32_e32 v109, v109, v112
	v_pk_mul_f32 v[102:103], v[102:103], v[106:107]
	v_lshlrev_b32_e32 v106, 2, v120
	v_exp_f32_e32 v109, v109
	v_cvt_i32_f32_e32 v112, v113
	buffer_store_dwordx2 v[102:103], v106, s[0:3], 0 offen
	v_mul_f32_e32 v103, 0x3d92220c, v105
	v_fma_f32 v103, -v105, v103, s8
	v_mul_f32_e32 v103, v105, v103
	v_mul_f32_e32 v106, 0x3fb8aa3b, v103
	v_ldexp_f32 v102, v109, v112
	v_fma_f32 v107, v103, s9, -v106
	v_rndne_f32_e32 v109, v106
	v_fmac_f32_e32 v107, 0x32a5705f, v103
	v_sub_f32_e32 v106, v106, v109
	v_add_f32_e32 v106, v106, v107
	v_exp_f32_e32 v106, v106
	v_cvt_i32_f32_e32 v107, v109
	v_cmp_ngt_f32_e32 vcc, s10, v108
	v_mfma_f32_16x16x4_f32 v[62:65], v42, v6, v[62:65]
	v_ldexp_f32 v106, v106, v107
	v_cndmask_b32_e32 v102, 0, v102, vcc
	v_cmp_nlt_f32_e32 vcc, s11, v108
	s_nop 1
	v_cndmask_b32_e32 v102, v119, v102, vcc
	v_cmp_ngt_f32_e32 vcc, s10, v103
	v_mfma_f32_16x16x4_f32 v[54:57], v43, v3, v[54:57]
	s_nop 0
	v_cndmask_b32_e32 v106, 0, v106, vcc
	v_cmp_nlt_f32_e32 vcc, s11, v103
	s_nop 1
	v_cndmask_b32_e32 v103, v119, v106, vcc
	v_add_f32_e64 v102, v102, 1.0
	v_add_f32_e64 v103, v103, 1.0
	v_mfma_f32_16x16x4_f32 v[62:65], v43, v7, v[62:65]
	v_frexp_mant_f32_e32 v106, v102
	v_frexp_mant_f32_e32 v107, v103
	v_rcp_f32_e32 v106, v106
	v_rcp_f32_e32 v107, v107
	v_frexp_exp_i32_f32_e32 v102, v102
	v_frexp_exp_i32_f32_e32 v103, v103
	v_sub_u32_e32 v102, 0, v102
	v_sub_u32_e32 v103, 0, v103
	v_ldexp_f32 v102, v106, v102
	v_ldexp_f32 v103, v107, v103
	v_pk_mul_f32 v[102:103], v[104:105], v[102:103]
	buffer_store_dwordx2 v[102:103], v110, s[0:3], 0 offen offset:392
	s_waitcnt lgkmcnt(0)
	s_barrier
	ds_write2_b32 v121, v114, v115 offset1:32
	ds_write2_b32 v121, v116, v117 offset0:64 offset1:96
	v_add_lshl_u32 v114, v111, s18, 2
	s_waitcnt lgkmcnt(0)
	s_barrier
	buffer_load_dwordx4 v[102:105], v114, s[12:15], 0 offen
	v_add_lshl_u32 v115, v123, s17, 2
	buffer_load_dwordx4 v[106:109], v115, s[4:7], 0 offen
	ds_read_b128 v[110:113], v122
	v_mfma_f32_16x16x4_f32 v[54:57], v44, v4, v[54:57]
	s_waitcnt vmcnt(1) lgkmcnt(0)
	v_add_f32_e64 v102, v110, v102
	v_add_f32_e64 v103, v111, v103
	;; [unrolled: 1-line block ×4, first 2 shown]
	s_waitcnt vmcnt(0)
	v_pk_add_f32 v[102:103], v[102:103], v[106:107]
	v_pk_add_f32 v[104:105], v[104:105], v[108:109]
	v_mul_f32_e32 v106, 0x3d92220c, v102
	v_fma_f32 v106, -v102, v106, s8
	v_mul_f32_e32 v106, v102, v106
	v_mul_f32_e32 v107, 0x3fb8aa3b, v106
	v_fma_f32 v110, v106, s9, -v107
	v_rndne_f32_e32 v111, v107
	v_fmac_f32_e32 v110, 0x32a5705f, v106
	v_sub_f32_e32 v107, v107, v111
	v_add_f32_e32 v107, v107, v110
	v_exp_f32_e32 v107, v107
	v_cvt_i32_f32_e32 v110, v111
	v_cmp_ngt_f32_e32 vcc, s10, v106
	v_mul_f32_e32 v108, 0x3d92220c, v104
	v_fma_f32 v108, -v104, v108, s8
	v_ldexp_f32 v107, v107, v110
	v_mul_f32_e32 v110, 0x3d92220c, v103
	v_fma_f32 v110, -v103, v110, s8
	v_mul_f32_e32 v110, v103, v110
	v_mul_f32_e32 v111, 0x3fb8aa3b, v110
	v_fma_f32 v116, v110, s9, -v111
	v_rndne_f32_e32 v117, v111
	v_fmac_f32_e32 v116, 0x32a5705f, v110
	v_sub_f32_e32 v111, v111, v117
	v_add_f32_e32 v111, v111, v116
	v_exp_f32_e32 v111, v111
	v_cvt_i32_f32_e32 v116, v117
	v_cndmask_b32_e32 v107, 0, v107, vcc
	v_cmp_nlt_f32_e32 vcc, s11, v106
	v_mul_f32_e32 v108, v104, v108
	v_mul_f32_e32 v109, 0x3fb8aa3b, v108
	v_cndmask_b32_e32 v106, v119, v107, vcc
	v_ldexp_f32 v107, v111, v116
	v_cmp_ngt_f32_e32 vcc, s10, v110
	v_fma_f32 v111, v108, s9, -v109
	v_rndne_f32_e32 v112, v109
	v_cndmask_b32_e32 v107, 0, v107, vcc
	v_cmp_nlt_f32_e32 vcc, s11, v110
	v_fmac_f32_e32 v111, 0x32a5705f, v108
	v_sub_f32_e32 v109, v109, v112
	v_cndmask_b32_e32 v107, v119, v107, vcc
	v_pk_add_f32 v[106:107], v[106:107], 1.0 op_sel_hi:[1,0]
	v_add_f32_e32 v109, v109, v111
	v_frexp_mant_f32_e32 v110, v106
	v_rcp_f32_e32 v110, v110
	v_frexp_exp_i32_f32_e32 v106, v106
	v_sub_u32_e32 v106, 0, v106
	v_exp_f32_e32 v109, v109
	v_ldexp_f32 v106, v110, v106
	v_frexp_mant_f32_e32 v110, v107
	v_rcp_f32_e32 v110, v110
	v_frexp_exp_i32_f32_e32 v107, v107
	v_sub_u32_e32 v107, 0, v107
	v_cvt_i32_f32_e32 v111, v112
	v_ldexp_f32 v107, v110, v107
	v_pk_mul_f32 v[102:103], v[102:103], v[106:107]
	v_mul_f32_e32 v107, 0x3d92220c, v105
	v_fma_f32 v107, -v105, v107, s8
	v_mul_f32_e32 v107, v105, v107
	v_ldexp_f32 v106, v109, v111
	v_mul_f32_e32 v109, 0x3fb8aa3b, v107
	v_fma_f32 v110, v107, s9, -v109
	v_rndne_f32_e32 v111, v109
	v_fmac_f32_e32 v110, 0x32a5705f, v107
	v_sub_f32_e32 v109, v109, v111
	v_add_f32_e32 v109, v109, v110
	v_exp_f32_e32 v109, v109
	v_cvt_i32_f32_e32 v110, v111
	v_cmp_ngt_f32_e32 vcc, s10, v108
	v_add_lshl_u32 v112, v120, s16, 2
	v_mfma_f32_16x16x4_f32 v[62:65], v44, v8, v[62:65]
	v_cndmask_b32_e32 v106, 0, v106, vcc
	v_cmp_nlt_f32_e32 vcc, s11, v108
	v_ldexp_f32 v108, v109, v110
	s_nop 0
	v_cndmask_b32_e32 v106, v119, v106, vcc
	v_cmp_ngt_f32_e32 vcc, s10, v107
	v_mfma_f32_16x16x4_f32 v[54:57], v45, v5, v[54:57]
	s_nop 0
	v_cndmask_b32_e32 v108, 0, v108, vcc
	v_cmp_nlt_f32_e32 vcc, s11, v107
	s_nop 1
	v_cndmask_b32_e32 v107, v119, v108, vcc
	v_add_f32_e64 v106, v106, 1.0
	v_add_f32_e64 v107, v107, 1.0
	v_frexp_mant_f32_e32 v108, v106
	v_frexp_mant_f32_e32 v109, v107
	v_rcp_f32_e32 v108, v108
	v_rcp_f32_e32 v109, v109
	v_frexp_exp_i32_f32_e32 v106, v106
	v_frexp_exp_i32_f32_e32 v107, v107
	v_sub_u32_e32 v106, 0, v106
	v_sub_u32_e32 v107, 0, v107
	v_ldexp_f32 v106, v108, v106
	v_ldexp_f32 v107, v109, v107
	v_pk_mul_f32 v[104:105], v[104:105], v[106:107]
	buffer_store_dwordx4 v[102:105], v112, s[0:3], 0 offen
	s_waitcnt lgkmcnt(0)
	s_barrier
	ds_write2_b32 v121, v98, v99 offset1:32
	ds_write2_b32 v121, v100, v101 offset0:64 offset1:96
	v_add_u32_e32 v98, 0xffffff80, v114
	s_waitcnt lgkmcnt(0)
	s_barrier
	buffer_load_dwordx2 v[102:103], v98, s[12:15], 0 offen
	v_add_u32_e32 v98, 0xffffff80, v115
	buffer_load_dwordx2 v[104:105], v98, s[4:7], 0 offen
	v_add_u32_e32 v98, 0xffffff88, v114
	;; [unrolled: 2-line block ×3, first 2 shown]
	buffer_load_dwordx2 v[108:109], v98, s[4:7], 0 offen
	ds_read_b128 v[98:101], v122
	v_mfma_f32_16x16x4_f32 v[62:65], v45, v9, v[62:65]
	s_waitcnt vmcnt(3) lgkmcnt(0)
	v_add_f32_e64 v98, v98, v102
	v_add_f32_e64 v99, v99, v103
	s_waitcnt vmcnt(2)
	v_add_f32_e64 v98, v98, v104
	v_add_f32_e64 v99, v99, v105
	v_mul_f32_e32 v102, 0x3d92220c, v98
	v_fma_f32 v102, -v98, v102, s8
	v_mul_f32_e32 v110, v98, v102
	v_mul_f32_e32 v102, 0x3fb8aa3b, v110
	v_fma_f32 v103, v110, s9, -v102
	v_rndne_f32_e32 v104, v102
	v_fmac_f32_e32 v103, 0x32a5705f, v110
	v_sub_f32_e32 v102, v102, v104
	v_add_f32_e32 v102, v102, v103
	v_exp_f32_e32 v111, v102
	v_cvt_i32_f32_e32 v113, v104
	v_cmp_ngt_f32_e32 vcc, s10, v110
	s_waitcnt vmcnt(1)
	v_pk_add_f32 v[100:101], v[100:101], v[106:107]
	v_mfma_f32_16x16x4_f32 v[102:105], v46, v30, 0
	v_ldexp_f32 v111, v111, v113
	v_mul_f32_e32 v113, 0x3d92220c, v99
	v_fma_f32 v113, -v99, v113, s8
	v_mul_f32_e32 v113, v99, v113
	v_mul_f32_e32 v116, 0x3fb8aa3b, v113
	v_fma_f32 v117, v113, s9, -v116
	v_rndne_f32_e32 v120, v116
	v_fmac_f32_e32 v117, 0x32a5705f, v113
	v_sub_f32_e32 v116, v116, v120
	v_add_f32_e32 v116, v116, v117
	v_exp_f32_e32 v116, v116
	v_cvt_i32_f32_e32 v117, v120
	v_cndmask_b32_e32 v111, 0, v111, vcc
	v_cmp_nlt_f32_e32 vcc, s11, v110
	s_waitcnt vmcnt(0)
	v_pk_add_f32 v[100:101], v[100:101], v[108:109]
	v_cndmask_b32_e32 v110, v119, v111, vcc
	v_ldexp_f32 v111, v116, v117
	v_cmp_ngt_f32_e32 vcc, s10, v113
	v_mul_f32_e32 v106, 0x3d92220c, v100
	v_fma_f32 v106, -v100, v106, s8
	v_cndmask_b32_e32 v111, 0, v111, vcc
	v_cmp_nlt_f32_e32 vcc, s11, v113
	v_mul_f32_e32 v106, v100, v106
	v_mul_f32_e32 v107, 0x3fb8aa3b, v106
	v_cndmask_b32_e32 v111, v119, v111, vcc
	v_pk_add_f32 v[110:111], v[110:111], 1.0 op_sel_hi:[1,0]
	v_fma_f32 v108, v106, s9, -v107
	v_frexp_mant_f32_e32 v113, v110
	v_frexp_mant_f32_e32 v116, v111
	v_rcp_f32_e32 v113, v113
	v_rcp_f32_e32 v116, v116
	v_frexp_exp_i32_f32_e32 v110, v110
	v_frexp_exp_i32_f32_e32 v111, v111
	v_rndne_f32_e32 v109, v107
	v_sub_u32_e32 v110, 0, v110
	v_sub_u32_e32 v111, 0, v111
	v_fmac_f32_e32 v108, 0x32a5705f, v106
	v_sub_f32_e32 v107, v107, v109
	v_ldexp_f32 v110, v113, v110
	v_ldexp_f32 v111, v116, v111
	v_add_f32_e32 v107, v107, v108
	v_exp_f32_e32 v107, v107
	v_cvt_i32_f32_e32 v108, v109
	v_pk_mul_f32 v[98:99], v[98:99], v[110:111]
	v_add_u32_e32 v109, 0xffffff80, v112
	buffer_store_dwordx2 v[98:99], v109, s[0:3], 0 offen
	v_mul_f32_e32 v99, 0x3d92220c, v101
	v_fma_f32 v99, -v101, v99, s8
	v_mul_f32_e32 v99, v101, v99
	v_ldexp_f32 v98, v107, v108
	v_mul_f32_e32 v107, 0x3fb8aa3b, v99
	v_fma_f32 v108, v99, s9, -v107
	v_rndne_f32_e32 v109, v107
	v_fmac_f32_e32 v108, 0x32a5705f, v99
	v_sub_f32_e32 v107, v107, v109
	v_add_f32_e32 v107, v107, v108
	v_exp_f32_e32 v107, v107
	v_cvt_i32_f32_e32 v108, v109
	v_cmp_ngt_f32_e32 vcc, s10, v106
	s_nop 1
	v_cndmask_b32_e32 v98, 0, v98, vcc
	v_cmp_nlt_f32_e32 vcc, s11, v106
	v_ldexp_f32 v106, v107, v108
	s_nop 0
	v_cndmask_b32_e32 v98, v119, v98, vcc
	v_cmp_ngt_f32_e32 vcc, s10, v99
	s_nop 1
	v_cndmask_b32_e32 v106, 0, v106, vcc
	v_cmp_nlt_f32_e32 vcc, s11, v99
	s_nop 1
	v_cndmask_b32_e32 v99, v119, v106, vcc
	v_pk_add_f32 v[98:99], v[98:99], 1.0 op_sel_hi:[1,0]
	s_nop 0
	v_frexp_mant_f32_e32 v106, v98
	v_frexp_mant_f32_e32 v107, v99
	v_rcp_f32_e32 v106, v106
	v_rcp_f32_e32 v107, v107
	v_frexp_exp_i32_f32_e32 v98, v98
	v_frexp_exp_i32_f32_e32 v99, v99
	v_sub_u32_e32 v98, 0, v98
	v_sub_u32_e32 v99, 0, v99
	v_ldexp_f32 v98, v106, v98
	v_ldexp_f32 v99, v107, v99
	v_pk_mul_f32 v[98:99], v[100:101], v[98:99]
	v_add_u32_e32 v100, 0xffffff88, v112
	buffer_store_dwordx2 v[98:99], v100, s[0:3], 0 offen
	s_waitcnt lgkmcnt(0)
	s_barrier
	ds_write2_b32 v121, v94, v95 offset1:32
	ds_write2_b32 v121, v96, v97 offset0:64 offset1:96
	v_add_u32_e32 v94, 0xffffff00, v114
	s_waitcnt lgkmcnt(0)
	s_barrier
	buffer_load_dwordx2 v[106:107], v94, s[12:15], 0 offen
	v_add_u32_e32 v94, 0xffffff00, v115
	buffer_load_dwordx2 v[108:109], v94, s[4:7], 0 offen
	v_add_u32_e32 v98, 0xffffff08, v114
	v_mfma_f32_16x16x4_f32 v[94:97], v47, v31, v[102:105]
	buffer_load_dwordx2 v[102:103], v98, s[12:15], 0 offen
	v_add_u32_e32 v98, 0xffffff08, v115
	buffer_load_dwordx2 v[104:105], v98, s[4:7], 0 offen
	ds_read_b128 v[98:101], v122
	s_waitcnt vmcnt(3) lgkmcnt(0)
	v_pk_add_f32 v[98:99], v[98:99], v[106:107]
	v_mfma_f32_16x16x4_f32 v[94:97], v48, v32, v[94:97]
	s_waitcnt vmcnt(2)
	v_add_f32_e64 v98, v98, v108
	v_add_f32_e64 v99, v99, v109
	s_waitcnt vmcnt(1)
	v_add_f32_e64 v100, v100, v102
	v_add_f32_e64 v101, v101, v103
	v_mul_f32_e32 v106, 0x3d92220c, v98
	v_fma_f32 v106, -v98, v106, s8
	v_mul_f32_e32 v106, v98, v106
	v_mul_f32_e32 v107, 0x3fb8aa3b, v106
	v_fma_f32 v108, v106, s9, -v107
	v_rndne_f32_e32 v109, v107
	v_fmac_f32_e32 v108, 0x32a5705f, v106
	v_sub_f32_e32 v107, v107, v109
	v_add_f32_e32 v107, v107, v108
	v_exp_f32_e32 v107, v107
	v_cvt_i32_f32_e32 v108, v109
	v_cmp_ngt_f32_e32 vcc, s10, v106
	s_waitcnt vmcnt(0)
	v_pk_add_f32 v[100:101], v[100:101], v[104:105]
	v_mfma_f32_16x16x4_f32 v[94:97], v49, v33, v[94:97]
	v_ldexp_f32 v107, v107, v108
	v_mul_f32_e32 v108, 0x3d92220c, v99
	v_fma_f32 v108, -v99, v108, s8
	v_mul_f32_e32 v108, v99, v108
	v_mul_f32_e32 v109, 0x3fb8aa3b, v108
	v_fma_f32 v110, v108, s9, -v109
	v_rndne_f32_e32 v111, v109
	v_fmac_f32_e32 v110, 0x32a5705f, v108
	v_sub_f32_e32 v109, v109, v111
	v_add_f32_e32 v109, v109, v110
	v_exp_f32_e32 v109, v109
	v_cvt_i32_f32_e32 v110, v111
	v_cndmask_b32_e32 v107, 0, v107, vcc
	v_cmp_nlt_f32_e32 vcc, s11, v106
	v_mul_f32_e32 v102, 0x3d92220c, v100
	v_fma_f32 v102, -v100, v102, s8
	v_cndmask_b32_e32 v106, v119, v107, vcc
	v_ldexp_f32 v107, v109, v110
	v_cmp_ngt_f32_e32 vcc, s10, v108
	v_mul_f32_e32 v102, v100, v102
	v_mul_f32_e32 v103, 0x3fb8aa3b, v102
	v_cndmask_b32_e32 v107, 0, v107, vcc
	v_cmp_nlt_f32_e32 vcc, s11, v108
	v_fma_f32 v104, v102, s9, -v103
	v_rndne_f32_e32 v105, v103
	v_cndmask_b32_e32 v107, v119, v107, vcc
	v_pk_add_f32 v[106:107], v[106:107], 1.0 op_sel_hi:[1,0]
	v_fmac_f32_e32 v104, 0x32a5705f, v102
	v_frexp_mant_f32_e32 v108, v106
	v_frexp_mant_f32_e32 v109, v107
	v_rcp_f32_e32 v108, v108
	v_rcp_f32_e32 v109, v109
	v_frexp_exp_i32_f32_e32 v106, v106
	v_frexp_exp_i32_f32_e32 v107, v107
	v_sub_u32_e32 v106, 0, v106
	v_sub_u32_e32 v107, 0, v107
	v_sub_f32_e32 v103, v103, v105
	v_ldexp_f32 v106, v108, v106
	v_ldexp_f32 v107, v109, v107
	v_add_f32_e32 v103, v103, v104
	v_exp_f32_e32 v103, v103
	v_cvt_i32_f32_e32 v104, v105
	v_pk_mul_f32 v[98:99], v[98:99], v[106:107]
	v_add_u32_e32 v105, 0xffffff00, v112
	buffer_store_dwordx2 v[98:99], v105, s[0:3], 0 offen
	v_mul_f32_e32 v99, 0x3d92220c, v101
	v_fma_f32 v99, -v101, v99, s8
	v_mul_f32_e32 v99, v101, v99
	v_ldexp_f32 v98, v103, v104
	v_mul_f32_e32 v103, 0x3fb8aa3b, v99
	v_fma_f32 v104, v99, s9, -v103
	v_rndne_f32_e32 v105, v103
	v_fmac_f32_e32 v104, 0x32a5705f, v99
	v_sub_f32_e32 v103, v103, v105
	v_add_f32_e32 v103, v103, v104
	v_exp_f32_e32 v103, v103
	v_cvt_i32_f32_e32 v104, v105
	v_cmp_ngt_f32_e32 vcc, s10, v102
	v_add_u32_e32 v106, s18, v1
	v_add_u32_e32 v107, s17, v118
	v_cndmask_b32_e32 v98, 0, v98, vcc
	v_cmp_nlt_f32_e32 vcc, s11, v102
	v_ldexp_f32 v102, v103, v104
	v_lshlrev_b32_e32 v1, 2, v106
	v_cndmask_b32_e32 v98, v119, v98, vcc
	v_cmp_ngt_f32_e32 vcc, s10, v99
	v_mfma_f32_16x16x4_f32 v[94:97], v42, v14, v[94:97]
	s_nop 0
	v_cndmask_b32_e32 v102, 0, v102, vcc
	v_cmp_nlt_f32_e32 vcc, s11, v99
	s_nop 1
	v_cndmask_b32_e32 v99, v119, v102, vcc
	v_add_f32_e64 v98, v98, 1.0
	v_add_f32_e64 v99, v99, 1.0
	v_mfma_f32_16x16x4_f32 v[94:97], v43, v15, v[94:97]
	v_frexp_mant_f32_e32 v102, v98
	v_frexp_mant_f32_e32 v103, v99
	v_rcp_f32_e32 v102, v102
	v_rcp_f32_e32 v103, v103
	v_frexp_exp_i32_f32_e32 v98, v98
	v_frexp_exp_i32_f32_e32 v99, v99
	v_sub_u32_e32 v98, 0, v98
	v_sub_u32_e32 v99, 0, v99
	v_ldexp_f32 v98, v102, v98
	v_ldexp_f32 v99, v103, v99
	v_pk_mul_f32 v[98:99], v[100:101], v[98:99]
	v_add_u32_e32 v100, 0xffffff08, v112
	buffer_store_dwordx2 v[98:99], v100, s[0:3], 0 offen
	s_waitcnt lgkmcnt(0)
	s_barrier
	ds_write2_b32 v121, v70, v71 offset1:32
	ds_write2_b32 v121, v72, v73 offset0:64 offset1:96
	s_waitcnt lgkmcnt(0)
	s_barrier
	buffer_load_dwordx4 v[70:73], v1, s[12:15], 0 offen
	v_lshlrev_b32_e32 v1, 2, v107
	buffer_load_dwordx4 v[98:101], v1, s[4:7], 0 offen
	ds_read_b128 v[102:105], v122
	s_waitcnt vmcnt(1) lgkmcnt(0)
	v_pk_add_f32 v[70:71], v[102:103], v[70:71]
	v_pk_add_f32 v[72:73], v[104:105], v[72:73]
	s_waitcnt vmcnt(0)
	v_pk_add_f32 v[70:71], v[70:71], v[98:99]
	v_pk_add_f32 v[72:73], v[72:73], v[100:101]
	v_mul_f32_e32 v1, 0x3d92220c, v70
	v_fma_f32 v1, -v70, v1, s8
	v_mul_f32_e32 v1, v70, v1
	v_mul_f32_e32 v98, 0x3fb8aa3b, v1
	v_fma_f32 v99, v1, s9, -v98
	v_rndne_f32_e32 v102, v98
	v_fmac_f32_e32 v99, 0x32a5705f, v1
	v_sub_f32_e32 v98, v98, v102
	v_add_f32_e32 v98, v98, v99
	v_exp_f32_e32 v98, v98
	v_cvt_i32_f32_e32 v99, v102
	v_cmp_ngt_f32_e32 vcc, s10, v1
	v_ldexp_f32 v98, v98, v99
	v_mul_f32_e32 v99, 0x3d92220c, v71
	v_fma_f32 v99, -v71, v99, s8
	v_mul_f32_e32 v99, v71, v99
	v_mul_f32_e32 v102, 0x3fb8aa3b, v99
	v_fma_f32 v103, v99, s9, -v102
	v_rndne_f32_e32 v108, v102
	v_fmac_f32_e32 v103, 0x32a5705f, v99
	v_sub_f32_e32 v102, v102, v108
	v_add_f32_e32 v102, v102, v103
	v_exp_f32_e32 v102, v102
	v_cvt_i32_f32_e32 v103, v108
	v_cndmask_b32_e32 v98, 0, v98, vcc
	v_cmp_nlt_f32_e32 vcc, s11, v1
	v_add_u32_e32 v108, s16, v0
	v_ldexp_f32 v1, v102, v103
	v_cndmask_b32_e32 v98, v119, v98, vcc
	v_cmp_ngt_f32_e32 vcc, s10, v99
	s_nop 1
	v_cndmask_b32_e32 v1, 0, v1, vcc
	v_cmp_nlt_f32_e32 vcc, s11, v99
	s_nop 1
	v_cndmask_b32_e32 v99, v119, v1, vcc
	v_pk_add_f32 v[98:99], v[98:99], 1.0 op_sel_hi:[1,0]
	s_nop 0
	v_frexp_mant_f32_e32 v1, v98
	v_rcp_f32_e32 v1, v1
	v_frexp_exp_i32_f32_e32 v0, v98
	v_sub_u32_e32 v0, 0, v0
	v_frexp_exp_i32_f32_e32 v98, v99
	v_ldexp_f32 v0, v1, v0
	v_frexp_mant_f32_e32 v1, v99
	v_mul_f32_e32 v99, 0x3d92220c, v72
	v_fma_f32 v99, -v72, v99, s8
	v_mul_f32_e32 v99, v72, v99
	v_rcp_f32_e32 v1, v1
	v_mul_f32_e32 v100, 0x3fb8aa3b, v99
	v_fma_f32 v101, v99, s9, -v100
	v_rndne_f32_e32 v102, v100
	v_fmac_f32_e32 v101, 0x32a5705f, v99
	v_sub_f32_e32 v100, v100, v102
	v_sub_u32_e32 v98, 0, v98
	v_add_f32_e32 v100, v100, v101
	v_exp_f32_e32 v100, v100
	v_cvt_i32_f32_e32 v101, v102
	v_ldexp_f32 v1, v1, v98
	v_pk_mul_f32 v[70:71], v[70:71], v[0:1]
	v_mul_f32_e32 v1, 0x3d92220c, v73
	v_fma_f32 v1, -v73, v1, s8
	v_mul_f32_e32 v1, v73, v1
	v_ldexp_f32 v0, v100, v101
	v_mul_f32_e32 v100, 0x3fb8aa3b, v1
	v_fma_f32 v101, v1, s9, -v100
	v_rndne_f32_e32 v102, v100
	v_fmac_f32_e32 v101, 0x32a5705f, v1
	v_sub_f32_e32 v100, v100, v102
	v_add_f32_e32 v100, v100, v101
	v_exp_f32_e32 v100, v100
	v_cvt_i32_f32_e32 v101, v102
	v_cmp_ngt_f32_e32 vcc, s10, v99
	v_lshlrev_b32_e32 v98, 2, v108
	s_nop 0
	v_cndmask_b32_e32 v0, 0, v0, vcc
	v_cmp_nlt_f32_e32 vcc, s11, v99
	v_ldexp_f32 v99, v100, v101
	s_nop 0
	v_cndmask_b32_e32 v0, v119, v0, vcc
	v_cmp_ngt_f32_e32 vcc, s10, v1
	s_nop 1
	v_cndmask_b32_e32 v99, 0, v99, vcc
	v_cmp_nlt_f32_e32 vcc, s11, v1
	s_nop 1
	v_cndmask_b32_e32 v1, v119, v99, vcc
	v_pk_add_f32 v[0:1], v[0:1], 1.0 op_sel_hi:[1,0]
	s_nop 0
	v_frexp_mant_f32_e32 v99, v0
	v_frexp_mant_f32_e32 v100, v1
	v_rcp_f32_e32 v99, v99
	v_rcp_f32_e32 v100, v100
	v_frexp_exp_i32_f32_e32 v0, v0
	v_frexp_exp_i32_f32_e32 v1, v1
	v_sub_u32_e32 v0, 0, v0
	v_sub_u32_e32 v1, 0, v1
	v_ldexp_f32 v0, v99, v0
	v_ldexp_f32 v1, v100, v1
	v_pk_mul_f32 v[72:73], v[72:73], v[0:1]
	v_add_u32_e32 v0, s18, v106
	v_add_u32_e32 v1, s17, v107
	v_lshlrev_b32_e32 v106, 2, v0
	buffer_store_dwordx4 v[70:73], v98, s[0:3], 0 offen
	s_waitcnt lgkmcnt(0)
	s_barrier
	ds_write2_b32 v121, v90, v91 offset1:32
	ds_write2_b32 v121, v92, v93 offset0:64 offset1:96
	s_waitcnt lgkmcnt(0)
	s_barrier
	buffer_load_dwordx4 v[90:93], v106, s[12:15], 0 offen
	v_lshlrev_b32_e32 v107, 2, v1
	buffer_load_dwordx4 v[98:101], v107, s[4:7], 0 offen
	ds_read_b128 v[102:105], v122
	v_mfma_f32_16x16x4_f32 v[70:73], v44, v16, v[94:97]
	s_waitcnt vmcnt(1) lgkmcnt(0)
	v_add_f32_e64 v90, v102, v90
	v_add_f32_e64 v91, v103, v91
	v_add_f32_e64 v92, v104, v92
	v_add_f32_e64 v93, v105, v93
	s_waitcnt vmcnt(0)
	v_pk_add_f32 v[94:95], v[90:91], v[98:99]
	v_mfma_f32_16x16x4_f32 v[70:73], v45, v17, v[70:73]
	v_mul_f32_e32 v90, 0x3d92220c, v94
	v_fma_f32 v90, -v94, v90, s8
	v_mul_f32_e32 v90, v94, v90
	v_mul_f32_e32 v91, 0x3fb8aa3b, v90
	v_fma_f32 v96, v90, s9, -v91
	v_rndne_f32_e32 v97, v91
	v_fmac_f32_e32 v96, 0x32a5705f, v90
	v_sub_f32_e32 v91, v91, v97
	v_add_f32_e32 v91, v91, v96
	v_exp_f32_e32 v91, v91
	v_cvt_i32_f32_e32 v96, v97
	v_cmp_ngt_f32_e32 vcc, s10, v90
	v_ldexp_f32 v91, v91, v96
	v_mul_f32_e32 v96, 0x3d92220c, v95
	v_fma_f32 v96, -v95, v96, s8
	v_mul_f32_e32 v96, v95, v96
	v_mul_f32_e32 v97, 0x3fb8aa3b, v96
	v_fma_f32 v98, v96, s9, -v97
	v_rndne_f32_e32 v99, v97
	v_fmac_f32_e32 v98, 0x32a5705f, v96
	v_sub_f32_e32 v97, v97, v99
	v_add_f32_e32 v97, v97, v98
	v_exp_f32_e32 v97, v97
	v_cvt_i32_f32_e32 v98, v99
	v_cndmask_b32_e32 v91, 0, v91, vcc
	v_cmp_nlt_f32_e32 vcc, s11, v90
	s_nop 1
	v_cndmask_b32_e32 v90, v119, v91, vcc
	v_ldexp_f32 v91, v97, v98
	v_cmp_ngt_f32_e32 vcc, s10, v96
	v_pk_add_f32 v[98:99], v[92:93], v[100:101]
	s_nop 0
	v_cndmask_b32_e32 v91, 0, v91, vcc
	v_cmp_nlt_f32_e32 vcc, s11, v96
	v_mul_f32_e32 v92, 0x3d92220c, v98
	v_fma_f32 v92, -v98, v92, s8
	v_cndmask_b32_e32 v91, v119, v91, vcc
	v_pk_add_f32 v[96:97], v[90:91], 1.0 op_sel_hi:[1,0]
	v_mul_f32_e32 v100, v98, v92
	v_frexp_mant_f32_e32 v90, v96
	v_rcp_f32_e32 v91, v90
	v_frexp_exp_i32_f32_e32 v96, v96
	v_sub_u32_e32 v96, 0, v96
	v_mul_f32_e32 v92, 0x3fb8aa3b, v100
	v_ldexp_f32 v96, v91, v96
	v_frexp_mant_f32_e32 v91, v97
	v_rcp_f32_e32 v91, v91
	v_frexp_exp_i32_f32_e32 v97, v97
	v_fma_f32 v93, v100, s9, -v92
	v_rndne_f32_e32 v101, v92
	v_sub_u32_e32 v97, 0, v97
	v_fmac_f32_e32 v93, 0x32a5705f, v100
	v_sub_f32_e32 v92, v92, v101
	v_add_f32_e32 v92, v92, v93
	v_ldexp_f32 v97, v91, v97
	v_exp_f32_e32 v102, v92
	v_cvt_i32_f32_e32 v101, v101
	v_pk_mul_f32 v[92:93], v[94:95], v[96:97]
	v_mul_f32_e32 v95, 0x3d92220c, v99
	v_fma_f32 v95, -v99, v95, s8
	v_mul_f32_e32 v95, v99, v95
	v_mul_f32_e32 v96, 0x3fb8aa3b, v95
	v_ldexp_f32 v94, v102, v101
	v_fma_f32 v97, v95, s9, -v96
	v_rndne_f32_e32 v101, v96
	v_fmac_f32_e32 v97, 0x32a5705f, v95
	v_sub_f32_e32 v96, v96, v101
	v_add_f32_e32 v96, v96, v97
	v_exp_f32_e32 v96, v96
	v_cvt_i32_f32_e32 v97, v101
	v_cmp_ngt_f32_e32 vcc, s10, v100
	v_add_u32_e32 v90, s16, v108
	v_lshlrev_b32_e32 v91, 2, v90
	v_cndmask_b32_e32 v94, 0, v94, vcc
	v_cmp_nlt_f32_e32 vcc, s11, v100
	v_ldexp_f32 v96, v96, v97
	v_mfma_f32_16x16x4_f32 v[100:103], v46, v22, 0
	v_cndmask_b32_e32 v94, v119, v94, vcc
	v_cmp_ngt_f32_e32 vcc, s10, v95
	s_nop 1
	v_cndmask_b32_e32 v96, 0, v96, vcc
	v_cmp_nlt_f32_e32 vcc, s11, v95
	v_mfma_f32_16x16x4_f32 v[100:103], v47, v23, v[100:103]
	s_nop 0
	v_cndmask_b32_e32 v95, v119, v96, vcc
	v_add_f32_e64 v94, v94, 1.0
	v_add_f32_e64 v95, v95, 1.0
	v_frexp_mant_f32_e32 v96, v94
	v_frexp_mant_f32_e32 v97, v95
	v_rcp_f32_e32 v96, v96
	v_rcp_f32_e32 v97, v97
	v_frexp_exp_i32_f32_e32 v94, v94
	v_frexp_exp_i32_f32_e32 v95, v95
	v_sub_u32_e32 v94, 0, v94
	v_sub_u32_e32 v95, 0, v95
	v_ldexp_f32 v94, v96, v94
	v_ldexp_f32 v95, v97, v95
	v_pk_mul_f32 v[94:95], v[98:99], v[94:95]
	buffer_store_dwordx4 v[92:95], v91, s[0:3], 0 offen
	s_waitcnt lgkmcnt(0)
	s_barrier
	ds_write2_b32 v121, v82, v83 offset1:32
	ds_write2_b32 v121, v84, v85 offset0:64 offset1:96
	s_waitcnt lgkmcnt(0)
	s_barrier
	buffer_load_dwordx4 v[82:85], v106, s[12:15], 0 offen offset:128
	buffer_load_dwordx4 v[92:95], v107, s[4:7], 0 offen offset:128
	ds_read_b128 v[96:99], v122
	v_mfma_f32_16x16x4_f32 v[100:103], v48, v24, v[100:103]
	s_waitcnt vmcnt(1) lgkmcnt(0)
	v_add_f32_e64 v82, v96, v82
	v_add_f32_e64 v83, v97, v83
	s_waitcnt vmcnt(0)
	v_add_f32_e64 v82, v82, v92
	v_add_f32_e64 v83, v83, v93
	v_pk_add_f32 v[84:85], v[98:99], v[84:85]
	v_mul_f32_e32 v46, 0x3d92220c, v82
	v_fma_f32 v46, -v82, v46, s8
	v_mul_f32_e32 v46, v82, v46
	v_mul_f32_e32 v92, 0x3fb8aa3b, v46
	v_fma_f32 v93, v46, s9, -v92
	v_rndne_f32_e32 v96, v92
	v_fmac_f32_e32 v93, 0x32a5705f, v46
	v_sub_f32_e32 v92, v92, v96
	v_add_f32_e32 v92, v92, v93
	v_exp_f32_e32 v92, v92
	v_cvt_i32_f32_e32 v93, v96
	v_cmp_ngt_f32_e32 vcc, s10, v46
	v_pk_add_f32 v[84:85], v[84:85], v[94:95]
	v_ldexp_f32 v47, v92, v93
	v_mul_f32_e32 v92, 0x3d92220c, v83
	v_fma_f32 v92, -v83, v92, s8
	v_mul_f32_e32 v92, v83, v92
	v_mul_f32_e32 v93, 0x3fb8aa3b, v92
	v_fma_f32 v96, v92, s9, -v93
	v_rndne_f32_e32 v97, v93
	v_fmac_f32_e32 v96, 0x32a5705f, v92
	v_sub_f32_e32 v93, v93, v97
	v_add_f32_e32 v93, v93, v96
	v_exp_f32_e32 v93, v93
	v_cvt_i32_f32_e32 v96, v97
	v_cndmask_b32_e32 v47, 0, v47, vcc
	v_cmp_nlt_f32_e32 vcc, s11, v46
	s_nop 1
	v_cndmask_b32_e32 v46, v119, v47, vcc
	v_ldexp_f32 v47, v93, v96
	v_cmp_ngt_f32_e32 vcc, s10, v92
	s_nop 1
	v_cndmask_b32_e32 v47, 0, v47, vcc
	v_cmp_nlt_f32_e32 vcc, s11, v92
	s_nop 1
	v_cndmask_b32_e32 v47, v119, v47, vcc
	v_pk_add_f32 v[46:47], v[46:47], 1.0 op_sel_hi:[1,0]
	s_nop 0
	v_frexp_mant_f32_e32 v92, v46
	v_rcp_f32_e32 v92, v92
	v_frexp_exp_i32_f32_e32 v46, v46
	v_sub_u32_e32 v46, 0, v46
	v_frexp_mant_f32_e32 v48, v47
	v_ldexp_f32 v46, v92, v46
	v_mul_f32_e32 v92, 0x3d92220c, v84
	v_fma_f32 v92, -v84, v92, s8
	v_rcp_f32_e32 v48, v48
	v_mul_f32_e32 v92, v84, v92
	v_mul_f32_e32 v93, 0x3fb8aa3b, v92
	v_frexp_exp_i32_f32_e32 v47, v47
	v_fma_f32 v94, v92, s9, -v93
	v_rndne_f32_e32 v95, v93
	v_fmac_f32_e32 v94, 0x32a5705f, v92
	v_sub_f32_e32 v93, v93, v95
	v_sub_u32_e32 v47, 0, v47
	v_add_f32_e32 v93, v93, v94
	v_ldexp_f32 v47, v48, v47
	v_exp_f32_e32 v93, v93
	v_cvt_i32_f32_e32 v94, v95
	v_pk_mul_f32 v[82:83], v[82:83], v[46:47]
	v_mul_f32_e32 v47, 0x3d92220c, v85
	v_fma_f32 v47, -v85, v47, s8
	v_mul_f32_e32 v47, v85, v47
	v_mul_f32_e32 v48, 0x3fb8aa3b, v47
	v_ldexp_f32 v46, v93, v94
	v_fma_f32 v93, v47, s9, -v48
	v_rndne_f32_e32 v94, v48
	v_fmac_f32_e32 v93, 0x32a5705f, v47
	v_sub_f32_e32 v48, v48, v94
	v_add_f32_e32 v48, v48, v93
	v_exp_f32_e32 v48, v48
	v_cvt_i32_f32_e32 v93, v94
	v_cmp_ngt_f32_e32 vcc, s10, v92
	v_ldexp_f32 v48, v48, v93
	s_nop 0
	v_cndmask_b32_e32 v46, 0, v46, vcc
	v_cmp_nlt_f32_e32 vcc, s11, v92
	s_nop 1
	v_cndmask_b32_e32 v46, v119, v46, vcc
	v_cmp_ngt_f32_e32 vcc, s10, v47
	s_nop 1
	v_cndmask_b32_e32 v48, 0, v48, vcc
	v_cmp_nlt_f32_e32 vcc, s11, v47
	s_nop 1
	v_cndmask_b32_e32 v47, v119, v48, vcc
	v_pk_add_f32 v[46:47], v[46:47], 1.0 op_sel_hi:[1,0]
	s_nop 0
	v_frexp_mant_f32_e32 v48, v46
	v_frexp_mant_f32_e32 v92, v47
	v_rcp_f32_e32 v48, v48
	v_rcp_f32_e32 v92, v92
	v_frexp_exp_i32_f32_e32 v46, v46
	v_frexp_exp_i32_f32_e32 v47, v47
	v_sub_u32_e32 v46, 0, v46
	v_sub_u32_e32 v47, 0, v47
	v_ldexp_f32 v46, v48, v46
	v_ldexp_f32 v47, v92, v47
	v_pk_mul_f32 v[84:85], v[84:85], v[46:47]
	buffer_store_dwordx4 v[82:85], v91, s[0:3], 0 offen offset:128
	s_waitcnt lgkmcnt(0)
	s_barrier
	ds_write2_b32 v121, v78, v79 offset1:32
	ds_write2_b32 v121, v80, v81 offset0:64 offset1:96
	s_waitcnt lgkmcnt(0)
	s_barrier
	buffer_load_dwordx4 v[78:81], v106, s[12:15], 0 offen offset:256
	buffer_load_dwordx4 v[82:85], v107, s[4:7], 0 offen offset:256
	ds_read_b128 v[92:95], v122
	v_mfma_f32_16x16x4_f32 v[46:49], v49, v25, v[100:103]
	s_waitcnt vmcnt(1) lgkmcnt(0)
	v_add_f32_e64 v78, v92, v78
	v_add_f32_e64 v79, v93, v79
	s_waitcnt vmcnt(0)
	v_add_f32_e64 v78, v78, v82
	v_add_f32_e64 v79, v79, v83
	v_mfma_f32_16x16x4_f32 v[46:49], v42, v18, v[46:49]
	v_mul_f32_e32 v82, 0x3d92220c, v78
	v_fma_f32 v82, -v78, v82, s8
	v_mul_f32_e32 v82, v78, v82
	v_mul_f32_e32 v83, 0x3fb8aa3b, v82
	v_fma_f32 v92, v82, s9, -v83
	v_rndne_f32_e32 v93, v83
	v_fmac_f32_e32 v92, 0x32a5705f, v82
	v_sub_f32_e32 v83, v83, v93
	v_add_f32_e32 v83, v83, v92
	v_exp_f32_e32 v83, v83
	v_cvt_i32_f32_e32 v92, v93
	v_cmp_ngt_f32_e32 vcc, s10, v82
	v_mfma_f32_16x16x4_f32 v[46:49], v43, v19, v[46:49]
	v_add_f32_e64 v80, v94, v80
	v_add_f32_e64 v81, v95, v81
	v_ldexp_f32 v42, v83, v92
	v_mul_f32_e32 v83, 0x3d92220c, v79
	v_fma_f32 v83, -v79, v83, s8
	v_mul_f32_e32 v83, v79, v83
	v_mul_f32_e32 v92, 0x3fb8aa3b, v83
	v_fma_f32 v93, v83, s9, -v92
	v_rndne_f32_e32 v96, v92
	v_fmac_f32_e32 v93, 0x32a5705f, v83
	v_sub_f32_e32 v92, v92, v96
	v_add_f32_e32 v92, v92, v93
	v_exp_f32_e32 v92, v92
	v_cvt_i32_f32_e32 v93, v96
	v_cndmask_b32_e32 v42, 0, v42, vcc
	v_cmp_nlt_f32_e32 vcc, s11, v82
	v_pk_add_f32 v[80:81], v[80:81], v[84:85]
	v_mfma_f32_16x16x4_f32 v[46:49], v44, v20, v[46:49]
	v_cndmask_b32_e32 v82, v119, v42, vcc
	v_ldexp_f32 v42, v92, v93
	v_cmp_ngt_f32_e32 vcc, s10, v83
	v_add_u32_e32 v93, 0x60, v1
	v_add_u32_e32 v94, 0x60, v90
	v_cndmask_b32_e32 v42, 0, v42, vcc
	v_cmp_nlt_f32_e32 vcc, s11, v83
	s_nop 1
	v_cndmask_b32_e32 v83, v119, v42, vcc
	v_pk_add_f32 v[82:83], v[82:83], 1.0 op_sel_hi:[1,0]
	s_nop 0
	v_frexp_mant_f32_e32 v42, v82
	v_rcp_f32_e32 v42, v42
	v_frexp_exp_i32_f32_e32 v43, v82
	v_sub_u32_e32 v43, 0, v43
	v_frexp_exp_i32_f32_e32 v82, v83
	v_ldexp_f32 v42, v42, v43
	v_frexp_mant_f32_e32 v43, v83
	v_mul_f32_e32 v83, 0x3d92220c, v80
	v_fma_f32 v83, -v80, v83, s8
	v_rcp_f32_e32 v43, v43
	v_mul_f32_e32 v83, v80, v83
	v_mul_f32_e32 v84, 0x3fb8aa3b, v83
	v_fma_f32 v85, v83, s9, -v84
	v_rndne_f32_e32 v92, v84
	v_fmac_f32_e32 v85, 0x32a5705f, v83
	v_sub_f32_e32 v84, v84, v92
	v_sub_u32_e32 v82, 0, v82
	v_add_f32_e32 v84, v84, v85
	v_ldexp_f32 v43, v43, v82
	v_exp_f32_e32 v84, v84
	v_cvt_i32_f32_e32 v85, v92
	v_pk_mul_f32 v[78:79], v[78:79], v[42:43]
	v_mul_f32_e32 v43, 0x3d92220c, v81
	v_fma_f32 v43, -v81, v43, s8
	v_mul_f32_e32 v43, v81, v43
	v_mul_f32_e32 v82, 0x3fb8aa3b, v43
	v_ldexp_f32 v42, v84, v85
	v_fma_f32 v84, v43, s9, -v82
	v_rndne_f32_e32 v85, v82
	v_fmac_f32_e32 v84, 0x32a5705f, v43
	v_sub_f32_e32 v82, v82, v85
	v_add_f32_e32 v82, v82, v84
	v_exp_f32_e32 v82, v82
	v_cvt_i32_f32_e32 v84, v85
	v_cmp_ngt_f32_e32 vcc, s10, v83
	v_add_u32_e32 v92, 0x60, v0
	v_ldexp_f32 v82, v82, v84
	v_cndmask_b32_e32 v42, 0, v42, vcc
	v_cmp_nlt_f32_e32 vcc, s11, v83
	s_nop 1
	v_cndmask_b32_e32 v42, v119, v42, vcc
	v_cmp_ngt_f32_e32 vcc, s10, v43
	s_nop 1
	v_cndmask_b32_e32 v82, 0, v82, vcc
	v_cmp_nlt_f32_e32 vcc, s11, v43
	s_nop 1
	v_cndmask_b32_e32 v43, v119, v82, vcc
	v_pk_add_f32 v[42:43], v[42:43], 1.0 op_sel_hi:[1,0]
	s_nop 0
	v_frexp_mant_f32_e32 v82, v42
	v_frexp_mant_f32_e32 v83, v43
	v_rcp_f32_e32 v82, v82
	v_rcp_f32_e32 v83, v83
	v_frexp_exp_i32_f32_e32 v42, v42
	v_frexp_exp_i32_f32_e32 v43, v43
	v_sub_u32_e32 v42, 0, v42
	v_sub_u32_e32 v43, 0, v43
	v_ldexp_f32 v42, v82, v42
	v_ldexp_f32 v43, v83, v43
	v_pk_mul_f32 v[80:81], v[80:81], v[42:43]
	v_lshlrev_b32_e32 v42, 2, v92
	buffer_store_dwordx4 v[78:81], v91, s[0:3], 0 offen offset:256
	s_waitcnt lgkmcnt(0)
	s_barrier
	ds_write2_b32 v121, v74, v75 offset1:32
	ds_write2_b32 v121, v76, v77 offset0:64 offset1:96
	s_waitcnt lgkmcnt(0)
	s_barrier
	buffer_load_dwordx2 v[78:79], v42, s[12:15], 0 offen
	v_lshlrev_b32_e32 v42, 2, v93
	buffer_load_dwordx2 v[80:81], v42, s[4:7], 0 offen
	buffer_load_dwordx2 v[82:83], v106, s[12:15], 0 offen offset:392
	buffer_load_dwordx2 v[84:85], v107, s[4:7], 0 offen offset:392
	ds_read_b128 v[74:77], v122
	v_mfma_f32_16x16x4_f32 v[42:45], v45, v21, v[46:49]
	s_waitcnt vmcnt(3) lgkmcnt(0)
	v_add_f32_e64 v46, v74, v78
	v_add_f32_e64 v47, v75, v79
	s_waitcnt vmcnt(2)
	v_add_f32_e64 v74, v46, v80
	v_add_f32_e64 v75, v47, v81
	v_mul_f32_e32 v46, 0x3d92220c, v74
	v_fma_f32 v46, -v74, v46, s8
	v_mul_f32_e32 v78, v74, v46
	v_mul_f32_e32 v46, 0x3fb8aa3b, v78
	v_fma_f32 v47, v78, s9, -v46
	v_rndne_f32_e32 v48, v46
	v_fmac_f32_e32 v47, 0x32a5705f, v78
	v_sub_f32_e32 v46, v46, v48
	v_add_f32_e32 v46, v46, v47
	v_exp_f32_e32 v79, v46
	v_cvt_i32_f32_e32 v80, v48
	v_mfma_f32_16x16x4_f32 v[46:49], v26, v38, 0
	v_cmp_ngt_f32_e32 vcc, s10, v78
	s_waitcnt vmcnt(1)
	v_add_f32_e64 v76, v76, v82
	v_add_f32_e64 v77, v77, v83
	v_ldexp_f32 v38, v79, v80
	v_mul_f32_e32 v79, 0x3d92220c, v75
	v_fma_f32 v79, -v75, v79, s8
	v_mul_f32_e32 v79, v75, v79
	v_mul_f32_e32 v80, 0x3fb8aa3b, v79
	v_fma_f32 v81, v79, s9, -v80
	v_rndne_f32_e32 v95, v80
	v_fmac_f32_e32 v81, 0x32a5705f, v79
	v_sub_f32_e32 v80, v80, v95
	v_add_f32_e32 v80, v80, v81
	v_exp_f32_e32 v80, v80
	v_cvt_i32_f32_e32 v81, v95
	v_cndmask_b32_e32 v38, 0, v38, vcc
	v_cmp_nlt_f32_e32 vcc, s11, v78
	s_waitcnt vmcnt(0)
	v_pk_add_f32 v[76:77], v[76:77], v[84:85]
	v_mfma_f32_16x16x4_f32 v[46:49], v27, v39, v[46:49]
	v_cndmask_b32_e32 v78, v119, v38, vcc
	v_ldexp_f32 v38, v80, v81
	v_cmp_ngt_f32_e32 vcc, s10, v79
	s_nop 1
	v_cndmask_b32_e32 v38, 0, v38, vcc
	v_cmp_nlt_f32_e32 vcc, s11, v79
	v_mfma_f32_16x16x4_f32 v[46:49], v28, v40, v[46:49]
	s_nop 0
	v_cndmask_b32_e32 v79, v119, v38, vcc
	v_add_f32_e64 v78, v78, 1.0
	v_add_f32_e64 v79, v79, 1.0
	v_frexp_mant_f32_e32 v38, v78
	v_rcp_f32_e32 v38, v38
	v_frexp_mant_f32_e32 v80, v79
	v_frexp_exp_i32_f32_e32 v78, v78
	v_rcp_f32_e32 v80, v80
	v_sub_u32_e32 v78, 0, v78
	v_ldexp_f32 v78, v38, v78
	v_frexp_exp_i32_f32_e32 v38, v79
	v_sub_u32_e32 v38, 0, v38
	v_ldexp_f32 v79, v80, v38
	v_mul_f32_e32 v38, 0x3d92220c, v76
	v_fma_f32 v38, -v76, v38, s8
	v_mul_f32_e32 v38, v76, v38
	v_mul_f32_e32 v80, 0x3fb8aa3b, v38
	v_fma_f32 v81, v38, s9, -v80
	v_rndne_f32_e32 v82, v80
	v_fmac_f32_e32 v81, 0x32a5705f, v38
	v_sub_f32_e32 v80, v80, v82
	v_add_f32_e32 v80, v80, v81
	v_pk_mul_f32 v[74:75], v[74:75], v[78:79]
	v_lshlrev_b32_e32 v78, 2, v94
	v_exp_f32_e32 v80, v80
	v_cvt_i32_f32_e32 v81, v82
	buffer_store_dwordx2 v[74:75], v78, s[0:3], 0 offen
	v_mul_f32_e32 v75, 0x3d92220c, v77
	v_fma_f32 v75, -v77, v75, s8
	v_mul_f32_e32 v75, v77, v75
	v_mul_f32_e32 v78, 0x3fb8aa3b, v75
	v_ldexp_f32 v74, v80, v81
	v_fma_f32 v79, v75, s9, -v78
	v_rndne_f32_e32 v80, v78
	v_fmac_f32_e32 v79, 0x32a5705f, v75
	v_sub_f32_e32 v78, v78, v80
	v_add_f32_e32 v78, v78, v79
	v_exp_f32_e32 v78, v78
	v_cvt_i32_f32_e32 v79, v80
	v_cmp_ngt_f32_e32 vcc, s10, v38
	s_nop 1
	v_cndmask_b32_e32 v74, 0, v74, vcc
	v_cmp_nlt_f32_e32 vcc, s11, v38
	v_ldexp_f32 v38, v78, v79
	s_nop 0
	v_cndmask_b32_e32 v74, v119, v74, vcc
	v_cmp_ngt_f32_e32 vcc, s10, v75
	s_nop 1
	v_cndmask_b32_e32 v38, 0, v38, vcc
	v_cmp_nlt_f32_e32 vcc, s11, v75
	s_nop 1
	v_cndmask_b32_e32 v75, v119, v38, vcc
	v_pk_add_f32 v[74:75], v[74:75], 1.0 op_sel_hi:[1,0]
	s_nop 0
	v_frexp_mant_f32_e32 v38, v74
	v_rcp_f32_e32 v38, v38
	v_frexp_mant_f32_e32 v78, v75
	v_frexp_exp_i32_f32_e32 v74, v74
	v_rcp_f32_e32 v78, v78
	v_sub_u32_e32 v74, 0, v74
	v_ldexp_f32 v74, v38, v74
	v_frexp_exp_i32_f32_e32 v38, v75
	v_sub_u32_e32 v38, 0, v38
	v_ldexp_f32 v75, v78, v38
	v_pk_mul_f32 v[74:75], v[76:77], v[74:75]
	buffer_store_dwordx2 v[74:75], v91, s[0:3], 0 offen offset:392
	s_waitcnt lgkmcnt(0)
	s_barrier
	ds_write2_b32 v121, v86, v87 offset1:32
	ds_write2_b32 v121, v88, v89 offset0:64 offset1:96
	v_add_lshl_u32 v86, v92, s18, 2
	s_waitcnt lgkmcnt(0)
	s_barrier
	buffer_load_dwordx4 v[74:77], v86, s[12:15], 0 offen
	v_add_lshl_u32 v87, v93, s17, 2
	buffer_load_dwordx4 v[78:81], v87, s[4:7], 0 offen
	ds_read_b128 v[82:85], v122
	s_waitcnt vmcnt(1) lgkmcnt(0)
	v_pk_add_f32 v[38:39], v[82:83], v[74:75]
	s_waitcnt vmcnt(0)
	v_pk_add_f32 v[74:75], v[38:39], v[78:79]
	s_nop 0
	v_mul_f32_e32 v38, 0x3d92220c, v74
	v_fma_f32 v38, -v74, v38, s8
	v_mul_f32_e32 v38, v74, v38
	v_mul_f32_e32 v39, 0x3fb8aa3b, v38
	v_fma_f32 v78, v38, s9, -v39
	v_rndne_f32_e32 v79, v39
	v_fmac_f32_e32 v78, 0x32a5705f, v38
	v_sub_f32_e32 v39, v39, v79
	v_add_f32_e32 v39, v39, v78
	v_exp_f32_e32 v39, v39
	v_cvt_i32_f32_e32 v78, v79
	v_mul_f32_e32 v40, 0x3d92220c, v75
	v_fma_f32 v40, -v75, v40, s8
	v_mul_f32_e32 v40, v75, v40
	v_ldexp_f32 v39, v39, v78
	v_mul_f32_e32 v78, 0x3fb8aa3b, v40
	v_fma_f32 v79, v40, s9, -v78
	v_rndne_f32_e32 v82, v78
	v_fmac_f32_e32 v79, 0x32a5705f, v40
	v_sub_f32_e32 v78, v78, v82
	v_add_f32_e32 v78, v78, v79
	v_exp_f32_e32 v78, v78
	v_cvt_i32_f32_e32 v79, v82
	v_cmp_ngt_f32_e32 vcc, s10, v38
	s_nop 1
	v_cndmask_b32_e32 v39, 0, v39, vcc
	v_cmp_nlt_f32_e32 vcc, s11, v38
	s_nop 1
	v_cndmask_b32_e32 v38, v119, v39, vcc
	v_ldexp_f32 v39, v78, v79
	v_cmp_ngt_f32_e32 vcc, s10, v40
	s_nop 1
	v_cndmask_b32_e32 v39, 0, v39, vcc
	v_cmp_nlt_f32_e32 vcc, s11, v40
	s_nop 1
	v_cndmask_b32_e32 v39, v119, v39, vcc
	v_pk_add_f32 v[78:79], v[38:39], 1.0 op_sel_hi:[1,0]
	s_nop 0
	v_frexp_mant_f32_e32 v38, v78
	v_rcp_f32_e32 v82, v38
	v_mfma_f32_16x16x4_f32 v[38:41], v29, v41, v[46:49]
	v_frexp_exp_i32_f32_e32 v48, v79
	v_frexp_exp_i32_f32_e32 v46, v78
	v_sub_u32_e32 v78, 0, v48
	v_add_f32_e64 v48, v84, v76
	v_add_f32_e64 v49, v85, v77
	v_frexp_mant_f32_e32 v47, v79
	v_pk_add_f32 v[48:49], v[48:49], v[80:81]
	v_rcp_f32_e32 v47, v47
	v_mul_f32_e32 v76, 0x3d92220c, v48
	v_fma_f32 v76, -v48, v76, s8
	v_mul_f32_e32 v76, v48, v76
	v_mul_f32_e32 v77, 0x3fb8aa3b, v76
	v_fma_f32 v79, v76, s9, -v77
	v_rndne_f32_e32 v80, v77
	v_fmac_f32_e32 v79, 0x32a5705f, v76
	v_sub_f32_e32 v77, v77, v80
	v_sub_u32_e32 v46, 0, v46
	v_add_f32_e32 v77, v77, v79
	v_ldexp_f32 v46, v82, v46
	v_exp_f32_e32 v77, v77
	v_cvt_i32_f32_e32 v79, v80
	v_ldexp_f32 v47, v47, v78
	v_pk_mul_f32 v[46:47], v[74:75], v[46:47]
	v_mul_f32_e32 v75, 0x3d92220c, v49
	v_fma_f32 v75, -v49, v75, s8
	v_mul_f32_e32 v75, v49, v75
	v_ldexp_f32 v74, v77, v79
	v_mul_f32_e32 v77, 0x3fb8aa3b, v75
	v_fma_f32 v78, v75, s9, -v77
	v_rndne_f32_e32 v79, v77
	v_fmac_f32_e32 v78, 0x32a5705f, v75
	v_sub_f32_e32 v77, v77, v79
	v_add_f32_e32 v77, v77, v78
	v_exp_f32_e32 v77, v77
	v_cvt_i32_f32_e32 v78, v79
	v_cmp_ngt_f32_e32 vcc, s10, v76
	v_add_lshl_u32 v82, v94, s16, 2
	v_mfma_f32_16x16x4_f32 v[38:41], v10, v2, v[38:41]
	v_cndmask_b32_e32 v74, 0, v74, vcc
	v_cmp_nlt_f32_e32 vcc, s11, v76
	v_ldexp_f32 v76, v77, v78
	v_add_u32_e32 v2, 0xffffff88, v86
	v_cndmask_b32_e32 v74, v119, v74, vcc
	v_cmp_ngt_f32_e32 vcc, s10, v75
	s_nop 1
	v_cndmask_b32_e32 v76, 0, v76, vcc
	v_cmp_nlt_f32_e32 vcc, s11, v75
	s_nop 1
	v_cndmask_b32_e32 v75, v119, v76, vcc
	v_pk_add_f32 v[74:75], v[74:75], 1.0 op_sel_hi:[1,0]
	s_nop 0
	v_frexp_mant_f32_e32 v76, v74
	v_frexp_mant_f32_e32 v77, v75
	v_rcp_f32_e32 v76, v76
	v_rcp_f32_e32 v77, v77
	v_frexp_exp_i32_f32_e32 v74, v74
	v_frexp_exp_i32_f32_e32 v75, v75
	v_sub_u32_e32 v74, 0, v74
	v_sub_u32_e32 v75, 0, v75
	v_ldexp_f32 v74, v76, v74
	v_ldexp_f32 v75, v77, v75
	v_pk_mul_f32 v[48:49], v[48:49], v[74:75]
	buffer_store_dwordx4 v[46:49], v82, s[0:3], 0 offen
	s_waitcnt lgkmcnt(0)
	s_barrier
	v_add_u32_e32 v46, 0xffffff80, v86
	ds_write2_b32 v121, v66, v67 offset1:32
	ds_write2_b32 v121, v68, v69 offset0:64 offset1:96
	s_waitcnt lgkmcnt(0)
	s_barrier
	buffer_load_dwordx2 v[74:75], v46, s[12:15], 0 offen
	buffer_load_dwordx2 v[78:79], v2, s[12:15], 0 offen
	v_add_u32_e32 v46, 0xffffff80, v87
	buffer_load_dwordx2 v[76:77], v46, s[4:7], 0 offen
	v_add_u32_e32 v2, 0xffffff88, v87
	buffer_load_dwordx2 v[80:81], v2, s[4:7], 0 offen
	ds_read_b128 v[46:49], v122
	v_mfma_f32_16x16x4_f32 v[66:69], v26, v34, 0
	s_waitcnt vmcnt(3) lgkmcnt(0)
	v_add_f32_e64 v46, v46, v74
	v_add_f32_e64 v47, v47, v75
	v_mfma_f32_16x16x4_f32 v[66:69], v27, v35, v[66:69]
	s_waitcnt vmcnt(2)
	v_add_f32_e64 v48, v48, v78
	v_add_f32_e64 v49, v49, v79
	s_waitcnt vmcnt(1)
	v_add_f32_e64 v46, v46, v76
	v_add_f32_e64 v47, v47, v77
	s_waitcnt vmcnt(0)
	v_pk_add_f32 v[48:49], v[48:49], v[80:81]
	v_mul_f32_e32 v2, 0x3d92220c, v46
	v_fma_f32 v2, -v46, v2, s8
	v_mul_f32_e32 v2, v46, v2
	v_mul_f32_e32 v34, 0x3fb8aa3b, v2
	v_fma_f32 v74, v2, s9, -v34
	v_rndne_f32_e32 v75, v34
	v_fmac_f32_e32 v74, 0x32a5705f, v2
	v_sub_f32_e32 v34, v34, v75
	v_add_f32_e32 v34, v34, v74
	v_exp_f32_e32 v34, v34
	v_cvt_i32_f32_e32 v74, v75
	v_mul_f32_e32 v35, 0x3d92220c, v47
	v_fma_f32 v35, -v47, v35, s8
	v_mul_f32_e32 v35, v47, v35
	v_ldexp_f32 v34, v34, v74
	v_mul_f32_e32 v74, 0x3fb8aa3b, v35
	v_fma_f32 v75, v35, s9, -v74
	v_rndne_f32_e32 v76, v74
	v_fmac_f32_e32 v75, 0x32a5705f, v35
	v_sub_f32_e32 v74, v74, v76
	v_add_f32_e32 v74, v74, v75
	v_exp_f32_e32 v74, v74
	v_cvt_i32_f32_e32 v75, v76
	v_cmp_ngt_f32_e32 vcc, s10, v2
	s_nop 1
	v_cndmask_b32_e32 v34, 0, v34, vcc
	v_cmp_nlt_f32_e32 vcc, s11, v2
	v_ldexp_f32 v2, v74, v75
	s_nop 0
	v_cndmask_b32_e32 v34, v119, v34, vcc
	v_cmp_ngt_f32_e32 vcc, s10, v35
	s_nop 1
	v_cndmask_b32_e32 v2, 0, v2, vcc
	v_cmp_nlt_f32_e32 vcc, s11, v35
	s_nop 1
	v_cndmask_b32_e32 v35, v119, v2, vcc
	v_pk_add_f32 v[34:35], v[34:35], 1.0 op_sel_hi:[1,0]
	s_nop 0
	v_frexp_mant_f32_e32 v2, v34
	v_rcp_f32_e32 v2, v2
	v_frexp_mant_f32_e32 v74, v35
	v_frexp_exp_i32_f32_e32 v34, v34
	v_rcp_f32_e32 v74, v74
	v_sub_u32_e32 v34, 0, v34
	v_ldexp_f32 v34, v2, v34
	v_frexp_exp_i32_f32_e32 v2, v35
	v_sub_u32_e32 v2, 0, v2
	v_ldexp_f32 v35, v74, v2
	v_mul_f32_e32 v2, 0x3d92220c, v48
	v_fma_f32 v2, -v48, v2, s8
	v_mul_f32_e32 v2, v48, v2
	v_mul_f32_e32 v74, 0x3fb8aa3b, v2
	v_fma_f32 v75, v2, s9, -v74
	v_rndne_f32_e32 v76, v74
	v_fmac_f32_e32 v75, 0x32a5705f, v2
	v_sub_f32_e32 v74, v74, v76
	v_add_f32_e32 v74, v74, v75
	v_pk_mul_f32 v[34:35], v[46:47], v[34:35]
	v_add_u32_e32 v46, 0xffffff80, v82
	v_exp_f32_e32 v74, v74
	v_cvt_i32_f32_e32 v75, v76
	buffer_store_dwordx2 v[34:35], v46, s[0:3], 0 offen
	v_mul_f32_e32 v35, 0x3d92220c, v49
	v_fma_f32 v35, -v49, v35, s8
	v_mul_f32_e32 v35, v49, v35
	v_mul_f32_e32 v46, 0x3fb8aa3b, v35
	v_ldexp_f32 v34, v74, v75
	v_fma_f32 v47, v35, s9, -v46
	v_rndne_f32_e32 v74, v46
	v_fmac_f32_e32 v47, 0x32a5705f, v35
	v_sub_f32_e32 v46, v46, v74
	v_add_f32_e32 v46, v46, v47
	v_exp_f32_e32 v46, v46
	v_cvt_i32_f32_e32 v47, v74
	v_cmp_ngt_f32_e32 vcc, s10, v2
	s_nop 1
	v_cndmask_b32_e32 v34, 0, v34, vcc
	v_cmp_nlt_f32_e32 vcc, s11, v2
	v_ldexp_f32 v2, v46, v47
	s_nop 0
	v_cndmask_b32_e32 v34, v119, v34, vcc
	v_cmp_ngt_f32_e32 vcc, s10, v35
	s_nop 1
	v_cndmask_b32_e32 v2, 0, v2, vcc
	v_cmp_nlt_f32_e32 vcc, s11, v35
	s_nop 1
	v_cndmask_b32_e32 v35, v119, v2, vcc
	v_pk_add_f32 v[34:35], v[34:35], 1.0 op_sel_hi:[1,0]
	s_nop 0
	v_frexp_mant_f32_e32 v2, v34
	v_rcp_f32_e32 v2, v2
	v_frexp_mant_f32_e32 v46, v35
	v_frexp_exp_i32_f32_e32 v34, v34
	v_rcp_f32_e32 v46, v46
	v_sub_u32_e32 v34, 0, v34
	v_ldexp_f32 v34, v2, v34
	v_frexp_exp_i32_f32_e32 v2, v35
	v_sub_u32_e32 v2, 0, v2
	v_ldexp_f32 v35, v46, v2
	v_pk_mul_f32 v[34:35], v[48:49], v[34:35]
	v_add_u32_e32 v2, 0xffffff88, v82
	buffer_store_dwordx2 v[34:35], v2, s[0:3], 0 offen
	v_add_u32_e32 v2, 0xffffff00, v86
	s_waitcnt lgkmcnt(0)
	s_barrier
	ds_write2_b32 v121, v58, v59 offset1:32
	ds_write2_b32 v121, v60, v61 offset0:64 offset1:96
	s_waitcnt lgkmcnt(0)
	s_barrier
	buffer_load_dwordx2 v[74:75], v2, s[12:15], 0 offen
	v_add_u32_e32 v2, 0xffffff00, v87
	buffer_load_dwordx2 v[76:77], v2, s[4:7], 0 offen
	v_add_u32_e32 v2, 0xffffff08, v86
	v_mfma_f32_16x16x4_f32 v[46:49], v28, v36, v[66:69]
	buffer_load_dwordx2 v[66:67], v2, s[12:15], 0 offen
	v_add_u32_e32 v2, 0xffffff08, v87
	buffer_load_dwordx2 v[68:69], v2, s[4:7], 0 offen
	ds_read_b128 v[58:61], v122
	v_mfma_f32_16x16x4_f32 v[34:37], v29, v37, v[46:49]
	s_waitcnt vmcnt(3) lgkmcnt(0)
	s_nop 3
	v_add_f32_e64 v46, v58, v74
	v_add_f32_e64 v47, v59, v75
	v_mfma_f32_16x16x4_f32 v[34:37], v10, v6, v[34:37]
	s_waitcnt vmcnt(2)
	v_add_f32_e64 v46, v46, v76
	v_add_f32_e64 v47, v47, v77
	v_add_u32_e32 v74, s16, v90
	v_mul_f32_e32 v2, 0x3d92220c, v46
	v_fma_f32 v2, -v46, v2, s8
	v_mul_f32_e32 v2, v46, v2
	v_mul_f32_e32 v48, 0x3fb8aa3b, v2
	v_fma_f32 v49, v2, s9, -v48
	v_rndne_f32_e32 v58, v48
	v_fmac_f32_e32 v49, 0x32a5705f, v2
	v_sub_f32_e32 v48, v48, v58
	v_add_f32_e32 v48, v48, v49
	v_exp_f32_e32 v48, v48
	v_cvt_i32_f32_e32 v49, v58
	v_cmp_ngt_f32_e32 vcc, s10, v2
	v_ldexp_f32 v6, v48, v49
	v_mul_f32_e32 v48, 0x3d92220c, v47
	v_fma_f32 v48, -v47, v48, s8
	v_mul_f32_e32 v49, v47, v48
	v_mul_f32_e32 v48, 0x3fb8aa3b, v49
	v_fma_f32 v58, v49, s9, -v48
	v_rndne_f32_e32 v59, v48
	v_fmac_f32_e32 v58, 0x32a5705f, v49
	v_sub_f32_e32 v48, v48, v59
	v_add_f32_e32 v48, v48, v58
	v_exp_f32_e32 v58, v48
	v_cvt_i32_f32_e32 v59, v59
	v_cndmask_b32_e32 v6, 0, v6, vcc
	v_cmp_nlt_f32_e32 vcc, s11, v2
	v_ldexp_f32 v2, v58, v59
	s_nop 0
	v_cndmask_b32_e32 v48, v119, v6, vcc
	v_cmp_ngt_f32_e32 vcc, s10, v49
	s_nop 1
	v_cndmask_b32_e32 v2, 0, v2, vcc
	v_cmp_nlt_f32_e32 vcc, s11, v49
	s_nop 1
	v_cndmask_b32_e32 v49, v119, v2, vcc
	v_pk_add_f32 v[48:49], v[48:49], 1.0 op_sel_hi:[1,0]
	s_nop 0
	v_frexp_mant_f32_e32 v2, v48
	v_rcp_f32_e32 v2, v2
	v_frexp_exp_i32_f32_e32 v6, v48
	v_frexp_mant_f32_e32 v48, v49
	v_rcp_f32_e32 v58, v48
	v_sub_u32_e32 v6, 0, v6
	v_ldexp_f32 v48, v2, v6
	v_frexp_exp_i32_f32_e32 v2, v49
	v_sub_u32_e32 v2, 0, v2
	v_ldexp_f32 v49, v58, v2
	s_waitcnt vmcnt(1)
	v_pk_add_f32 v[58:59], v[60:61], v[66:67]
	v_pk_mul_f32 v[46:47], v[46:47], v[48:49]
	s_waitcnt vmcnt(0)
	v_pk_add_f32 v[58:59], v[58:59], v[68:69]
	v_add_u32_e32 v48, 0xffffff00, v82
	v_mul_f32_e32 v2, 0x3d92220c, v58
	v_fma_f32 v2, -v58, v2, s8
	v_mul_f32_e32 v2, v58, v2
	buffer_store_dwordx2 v[46:47], v48, s[0:3], 0 offen
	v_mul_f32_e32 v46, 0x3d92220c, v59
	v_mul_f32_e32 v6, 0x3fb8aa3b, v2
	v_fma_f32 v46, -v59, v46, s8
	v_fma_f32 v60, v2, s9, -v6
	v_rndne_f32_e32 v61, v6
	v_mul_f32_e32 v47, v59, v46
	v_fmac_f32_e32 v60, 0x32a5705f, v2
	v_sub_f32_e32 v6, v6, v61
	v_mul_f32_e32 v46, 0x3fb8aa3b, v47
	v_add_f32_e32 v6, v6, v60
	v_fma_f32 v48, v47, s9, -v46
	v_rndne_f32_e32 v49, v46
	v_exp_f32_e32 v6, v6
	v_cvt_i32_f32_e32 v60, v61
	v_fmac_f32_e32 v48, 0x32a5705f, v47
	v_sub_f32_e32 v46, v46, v49
	v_add_f32_e32 v46, v46, v48
	v_exp_f32_e32 v48, v46
	v_cvt_i32_f32_e32 v49, v49
	v_ldexp_f32 v6, v6, v60
	v_cmp_ngt_f32_e32 vcc, s10, v2
	v_mfma_f32_16x16x4_f32 v[66:69], v26, v30, 0
	s_nop 0
	v_cndmask_b32_e32 v6, 0, v6, vcc
	v_cmp_nlt_f32_e32 vcc, s11, v2
	v_ldexp_f32 v2, v48, v49
	s_nop 0
	v_cndmask_b32_e32 v46, v119, v6, vcc
	v_cmp_ngt_f32_e32 vcc, s10, v47
	v_mfma_f32_16x16x4_f32 v[66:69], v27, v31, v[66:69]
	s_nop 0
	v_cndmask_b32_e32 v2, 0, v2, vcc
	v_cmp_nlt_f32_e32 vcc, s11, v47
	s_nop 1
	v_cndmask_b32_e32 v47, v119, v2, vcc
	v_add_f32_e64 v46, v46, 1.0
	v_add_f32_e64 v47, v47, 1.0
	v_frexp_mant_f32_e32 v2, v46
	v_rcp_f32_e32 v2, v2
	v_frexp_exp_i32_f32_e32 v6, v46
	v_frexp_mant_f32_e32 v46, v47
	v_rcp_f32_e32 v48, v46
	v_sub_u32_e32 v6, 0, v6
	v_ldexp_f32 v46, v2, v6
	v_frexp_exp_i32_f32_e32 v2, v47
	v_sub_u32_e32 v2, 0, v2
	v_ldexp_f32 v47, v48, v2
	v_pk_mul_f32 v[46:47], v[58:59], v[46:47]
	v_add_u32_e32 v2, 0xffffff08, v82
	buffer_store_dwordx2 v[46:47], v2, s[0:3], 0 offen
	v_add_u32_e32 v2, s18, v0
	v_add_u32_e32 v6, s17, v1
	v_lshlrev_b32_e32 v0, 2, v2
	s_waitcnt lgkmcnt(0)
	s_barrier
	ds_write2_b32 v121, v50, v51 offset1:32
	ds_write2_b32 v121, v52, v53 offset0:64 offset1:96
	s_waitcnt lgkmcnt(0)
	s_barrier
	buffer_load_dwordx4 v[46:49], v0, s[12:15], 0 offen
	v_lshlrev_b32_e32 v0, 2, v6
	buffer_load_dwordx4 v[50:53], v0, s[4:7], 0 offen
	ds_read_b128 v[58:61], v122
	v_add_u32_e32 v2, s18, v2
	v_lshlrev_b32_e32 v75, 2, v2
	s_waitcnt vmcnt(1) lgkmcnt(0)
	v_pk_add_f32 v[0:1], v[58:59], v[46:47]
	s_waitcnt vmcnt(0)
	v_pk_add_f32 v[0:1], v[0:1], v[50:51]
	s_nop 0
	v_mul_f32_e32 v30, 0x3d92220c, v0
	v_fma_f32 v30, -v0, v30, s8
	v_mul_f32_e32 v30, v0, v30
	v_mul_f32_e32 v46, 0x3fb8aa3b, v30
	v_fma_f32 v47, v30, s9, -v46
	v_rndne_f32_e32 v50, v46
	v_fmac_f32_e32 v47, 0x32a5705f, v30
	v_sub_f32_e32 v46, v46, v50
	v_add_f32_e32 v46, v46, v47
	v_exp_f32_e32 v46, v46
	v_cvt_i32_f32_e32 v47, v50
	v_cmp_ngt_f32_e32 vcc, s10, v30
	v_ldexp_f32 v31, v46, v47
	v_mul_f32_e32 v46, 0x3d92220c, v1
	v_fma_f32 v46, -v1, v46, s8
	v_mul_f32_e32 v46, v1, v46
	v_mul_f32_e32 v47, 0x3fb8aa3b, v46
	v_fma_f32 v50, v46, s9, -v47
	v_rndne_f32_e32 v51, v47
	v_fmac_f32_e32 v50, 0x32a5705f, v46
	v_sub_f32_e32 v47, v47, v51
	v_add_f32_e32 v47, v47, v50
	v_exp_f32_e32 v47, v47
	v_cvt_i32_f32_e32 v50, v51
	v_cndmask_b32_e32 v31, 0, v31, vcc
	v_cmp_nlt_f32_e32 vcc, s11, v30
	s_nop 1
	v_cndmask_b32_e32 v30, v119, v31, vcc
	v_ldexp_f32 v31, v47, v50
	v_cmp_ngt_f32_e32 vcc, s10, v46
	s_nop 1
	v_cndmask_b32_e32 v31, 0, v31, vcc
	v_cmp_nlt_f32_e32 vcc, s11, v46
	s_nop 1
	v_cndmask_b32_e32 v31, v119, v31, vcc
	v_pk_add_f32 v[30:31], v[30:31], 1.0 op_sel_hi:[1,0]
	s_nop 0
	v_frexp_mant_f32_e32 v46, v30
	v_rcp_f32_e32 v46, v46
	v_frexp_exp_i32_f32_e32 v30, v30
	v_sub_u32_e32 v30, 0, v30
	v_ldexp_f32 v30, v46, v30
	v_frexp_mant_f32_e32 v46, v31
	v_rcp_f32_e32 v50, v46
	v_pk_add_f32 v[46:47], v[60:61], v[48:49]
	v_frexp_exp_i32_f32_e32 v31, v31
	v_pk_add_f32 v[48:49], v[46:47], v[52:53]
	v_sub_u32_e32 v31, 0, v31
	v_mul_f32_e32 v46, 0x3d92220c, v48
	v_fma_f32 v46, -v48, v46, s8
	v_mul_f32_e32 v51, v48, v46
	v_mul_f32_e32 v46, 0x3fb8aa3b, v51
	v_fma_f32 v47, v51, s9, -v46
	v_rndne_f32_e32 v52, v46
	v_fmac_f32_e32 v47, 0x32a5705f, v51
	v_sub_f32_e32 v46, v46, v52
	v_add_f32_e32 v46, v46, v47
	v_ldexp_f32 v31, v50, v31
	v_exp_f32_e32 v53, v46
	v_cvt_i32_f32_e32 v52, v52
	v_pk_mul_f32 v[46:47], v[0:1], v[30:31]
	v_mul_f32_e32 v1, 0x3d92220c, v49
	v_fma_f32 v1, -v49, v1, s8
	v_mul_f32_e32 v1, v49, v1
	v_mul_f32_e32 v31, 0x3fb8aa3b, v1
	v_ldexp_f32 v0, v53, v52
	v_fma_f32 v50, v1, s9, -v31
	v_rndne_f32_e32 v52, v31
	v_fmac_f32_e32 v50, 0x32a5705f, v1
	v_sub_f32_e32 v31, v31, v52
	v_add_f32_e32 v31, v31, v50
	v_exp_f32_e32 v31, v31
	v_cvt_i32_f32_e32 v50, v52
	v_cmp_ngt_f32_e32 vcc, s10, v51
	v_lshlrev_b32_e32 v30, 2, v74
	v_mfma_f32_16x16x4_f32 v[58:61], v28, v32, v[66:69]
	v_cndmask_b32_e32 v0, 0, v0, vcc
	v_cmp_nlt_f32_e32 vcc, s11, v51
	v_ldexp_f32 v31, v31, v50
	s_nop 0
	v_cndmask_b32_e32 v0, v119, v0, vcc
	v_cmp_ngt_f32_e32 vcc, s10, v1
	s_nop 1
	v_cndmask_b32_e32 v31, 0, v31, vcc
	v_cmp_nlt_f32_e32 vcc, s11, v1
	s_nop 1
	v_cndmask_b32_e32 v1, v119, v31, vcc
	v_pk_add_f32 v[0:1], v[0:1], 1.0 op_sel_hi:[1,0]
	s_nop 0
	v_frexp_mant_f32_e32 v31, v0
	v_frexp_mant_f32_e32 v50, v1
	v_rcp_f32_e32 v31, v31
	v_rcp_f32_e32 v50, v50
	v_frexp_exp_i32_f32_e32 v0, v0
	v_frexp_exp_i32_f32_e32 v1, v1
	v_sub_u32_e32 v0, 0, v0
	v_sub_u32_e32 v1, 0, v1
	v_ldexp_f32 v0, v31, v0
	v_ldexp_f32 v1, v50, v1
	v_pk_mul_f32 v[48:49], v[48:49], v[0:1]
	v_add_u32_e32 v1, s17, v6
	buffer_store_dwordx4 v[46:49], v30, s[0:3], 0 offen
	s_waitcnt lgkmcnt(0)
	s_barrier
	ds_write2_b32 v121, v54, v55 offset1:32
	ds_write2_b32 v121, v56, v57 offset0:64 offset1:96
	s_waitcnt lgkmcnt(0)
	s_barrier
	buffer_load_dwordx4 v[46:49], v75, s[12:15], 0 offen
	v_lshlrev_b32_e32 v76, 2, v1
	buffer_load_dwordx4 v[50:53], v76, s[4:7], 0 offen
	ds_read_b128 v[54:57], v122
	s_waitcnt vmcnt(1) lgkmcnt(0)
	v_pk_add_f32 v[30:31], v[54:55], v[46:47]
	v_pk_add_f32 v[48:49], v[56:57], v[48:49]
	s_waitcnt vmcnt(0)
	v_pk_add_f32 v[46:47], v[30:31], v[50:51]
	v_pk_add_f32 v[48:49], v[48:49], v[52:53]
	v_mul_f32_e32 v0, 0x3d92220c, v46
	v_fma_f32 v0, -v46, v0, s8
	v_mul_f32_e32 v0, v46, v0
	v_mul_f32_e32 v6, 0x3fb8aa3b, v0
	v_fma_f32 v30, v0, s9, -v6
	v_rndne_f32_e32 v31, v6
	v_fmac_f32_e32 v30, 0x32a5705f, v0
	v_sub_f32_e32 v6, v6, v31
	v_add_f32_e32 v6, v6, v30
	v_exp_f32_e32 v6, v6
	v_cvt_i32_f32_e32 v50, v31
	v_cmp_ngt_f32_e32 vcc, s10, v0
	v_mul_f32_e32 v52, 0x3d92220c, v48
	v_fma_f32 v52, -v48, v52, s8
	v_ldexp_f32 v6, v6, v50
	v_mul_f32_e32 v50, 0x3d92220c, v47
	v_fma_f32 v50, -v47, v50, s8
	v_mul_f32_e32 v51, v47, v50
	v_mul_f32_e32 v50, 0x3fb8aa3b, v51
	v_fma_f32 v54, v51, s9, -v50
	v_rndne_f32_e32 v55, v50
	v_fmac_f32_e32 v54, 0x32a5705f, v51
	v_sub_f32_e32 v50, v50, v55
	v_add_f32_e32 v50, v50, v54
	v_exp_f32_e32 v54, v50
	v_cvt_i32_f32_e32 v55, v55
	v_cndmask_b32_e32 v6, 0, v6, vcc
	v_cmp_nlt_f32_e32 vcc, s11, v0
	v_mul_f32_e32 v52, v48, v52
	v_ldexp_f32 v0, v54, v55
	v_cndmask_b32_e32 v50, v119, v6, vcc
	v_cmp_ngt_f32_e32 vcc, s10, v51
	v_mul_f32_e32 v53, 0x3fb8aa3b, v52
	v_fma_f32 v54, v52, s9, -v53
	v_cndmask_b32_e32 v0, 0, v0, vcc
	v_cmp_nlt_f32_e32 vcc, s11, v51
	v_rndne_f32_e32 v55, v53
	v_fmac_f32_e32 v54, 0x32a5705f, v52
	v_cndmask_b32_e32 v51, v119, v0, vcc
	v_pk_add_f32 v[50:51], v[50:51], 1.0 op_sel_hi:[1,0]
	v_sub_f32_e32 v53, v53, v55
	v_frexp_mant_f32_e32 v0, v50
	v_rcp_f32_e32 v6, v0
	v_frexp_exp_i32_f32_e32 v50, v50
	v_sub_u32_e32 v50, 0, v50
	v_add_f32_e32 v53, v53, v54
	v_ldexp_f32 v50, v6, v50
	v_frexp_mant_f32_e32 v6, v51
	v_rcp_f32_e32 v6, v6
	v_frexp_exp_i32_f32_e32 v51, v51
	v_sub_u32_e32 v51, 0, v51
	v_exp_f32_e32 v53, v53
	v_cvt_i32_f32_e32 v54, v55
	v_ldexp_f32 v51, v6, v51
	v_pk_mul_f32 v[46:47], v[46:47], v[50:51]
	v_mul_f32_e32 v51, 0x3d92220c, v49
	v_fma_f32 v51, -v49, v51, s8
	v_mul_f32_e32 v51, v49, v51
	v_ldexp_f32 v50, v53, v54
	v_mul_f32_e32 v53, 0x3fb8aa3b, v51
	v_fma_f32 v54, v51, s9, -v53
	v_rndne_f32_e32 v55, v53
	v_fmac_f32_e32 v54, 0x32a5705f, v51
	v_sub_f32_e32 v53, v53, v55
	v_add_f32_e32 v53, v53, v54
	v_exp_f32_e32 v53, v53
	v_cvt_i32_f32_e32 v54, v55
	v_cmp_ngt_f32_e32 vcc, s10, v52
	v_add_u32_e32 v0, s16, v74
	v_lshlrev_b32_e32 v6, 2, v0
	v_cndmask_b32_e32 v50, 0, v50, vcc
	v_cmp_nlt_f32_e32 vcc, s11, v52
	v_ldexp_f32 v52, v53, v54
	v_mfma_f32_16x16x4_f32 v[30:33], v29, v33, v[58:61]
	v_cndmask_b32_e32 v50, v119, v50, vcc
	v_cmp_ngt_f32_e32 vcc, s10, v51
	s_nop 1
	v_cndmask_b32_e32 v52, 0, v52, vcc
	v_cmp_nlt_f32_e32 vcc, s11, v51
	v_mfma_f32_16x16x4_f32 v[30:33], v10, v14, v[30:33]
	s_nop 0
	v_cndmask_b32_e32 v51, v119, v52, vcc
	v_add_f32_e64 v50, v50, 1.0
	v_add_f32_e64 v51, v51, 1.0
	v_frexp_mant_f32_e32 v52, v50
	v_frexp_mant_f32_e32 v53, v51
	v_rcp_f32_e32 v52, v52
	v_rcp_f32_e32 v53, v53
	v_frexp_exp_i32_f32_e32 v50, v50
	v_frexp_exp_i32_f32_e32 v51, v51
	v_sub_u32_e32 v50, 0, v50
	v_sub_u32_e32 v51, 0, v51
	v_ldexp_f32 v50, v52, v50
	v_ldexp_f32 v51, v53, v51
	v_pk_mul_f32 v[48:49], v[48:49], v[50:51]
	buffer_store_dwordx4 v[46:49], v6, s[0:3], 0 offen
	s_waitcnt lgkmcnt(0)
	s_barrier
	ds_write2_b32 v121, v62, v63 offset1:32
	ds_write2_b32 v121, v64, v65 offset0:64 offset1:96
	s_waitcnt lgkmcnt(0)
	s_barrier
	buffer_load_dwordx4 v[46:49], v75, s[12:15], 0 offen offset:128
	buffer_load_dwordx4 v[50:53], v76, s[4:7], 0 offen offset:128
	ds_read_b128 v[54:57], v122
	v_mfma_f32_16x16x4_f32 v[58:61], v26, v22, 0
	s_waitcnt vmcnt(1) lgkmcnt(0)
	v_add_f32_e64 v46, v54, v46
	v_add_f32_e64 v47, v55, v47
	s_waitcnt vmcnt(0)
	v_add_f32_e64 v46, v46, v50
	v_add_f32_e64 v47, v47, v51
	v_mfma_f32_16x16x4_f32 v[58:61], v27, v23, v[58:61]
	v_mul_f32_e32 v14, 0x3d92220c, v46
	v_fma_f32 v14, -v46, v14, s8
	v_mul_f32_e32 v14, v46, v14
	v_mul_f32_e32 v50, 0x3fb8aa3b, v14
	v_fma_f32 v51, v14, s9, -v50
	v_rndne_f32_e32 v54, v50
	v_fmac_f32_e32 v51, 0x32a5705f, v14
	v_sub_f32_e32 v50, v50, v54
	v_add_f32_e32 v50, v50, v51
	v_exp_f32_e32 v50, v50
	v_cvt_i32_f32_e32 v51, v54
	v_mul_f32_e32 v26, 0x3d92220c, v47
	v_fma_f32 v26, -v47, v26, s8
	v_mul_f32_e32 v26, v47, v26
	v_ldexp_f32 v22, v50, v51
	v_mul_f32_e32 v50, 0x3fb8aa3b, v26
	v_fma_f32 v51, v26, s9, -v50
	v_rndne_f32_e32 v54, v50
	v_fmac_f32_e32 v51, 0x32a5705f, v26
	v_sub_f32_e32 v50, v50, v54
	v_add_f32_e32 v50, v50, v51
	v_exp_f32_e32 v51, v50
	v_cvt_i32_f32_e32 v54, v54
	v_cmp_ngt_f32_e32 vcc, s10, v14
	v_mfma_f32_16x16x4_f32 v[58:61], v28, v24, v[58:61]
	s_nop 0
	v_cndmask_b32_e32 v22, 0, v22, vcc
	v_cmp_nlt_f32_e32 vcc, s11, v14
	v_ldexp_f32 v14, v51, v54
	s_nop 0
	v_cndmask_b32_e32 v50, v119, v22, vcc
	v_cmp_ngt_f32_e32 vcc, s10, v26
	v_mfma_f32_16x16x4_f32 v[30:33], v11, v15, v[30:33]
	s_nop 0
	v_cndmask_b32_e32 v14, 0, v14, vcc
	v_cmp_nlt_f32_e32 vcc, s11, v26
	v_add_f32_e64 v26, v56, v48
	v_add_f32_e64 v27, v57, v49
	v_cndmask_b32_e32 v51, v119, v14, vcc
	v_pk_add_f32 v[50:51], v[50:51], 1.0 op_sel_hi:[1,0]
	v_pk_add_f32 v[26:27], v[26:27], v[52:53]
	v_frexp_mant_f32_e32 v14, v50
	v_rcp_f32_e32 v14, v14
	v_frexp_exp_i32_f32_e32 v22, v50
	v_sub_u32_e32 v22, 0, v22
	v_mul_f32_e32 v48, 0x3d92220c, v26
	v_ldexp_f32 v22, v14, v22
	v_frexp_mant_f32_e32 v14, v51
	v_fma_f32 v48, -v26, v48, s8
	v_rcp_f32_e32 v14, v14
	v_mul_f32_e32 v48, v26, v48
	v_mul_f32_e32 v49, 0x3fb8aa3b, v48
	v_frexp_exp_i32_f32_e32 v23, v51
	v_fma_f32 v50, v48, s9, -v49
	v_rndne_f32_e32 v51, v49
	v_fmac_f32_e32 v50, 0x32a5705f, v48
	v_sub_f32_e32 v49, v49, v51
	v_sub_u32_e32 v23, 0, v23
	v_add_f32_e32 v49, v49, v50
	v_ldexp_f32 v23, v14, v23
	v_exp_f32_e32 v49, v49
	v_cvt_i32_f32_e32 v50, v51
	v_pk_mul_f32 v[46:47], v[46:47], v[22:23]
	v_mul_f32_e32 v22, 0x3d92220c, v27
	v_fma_f32 v22, -v27, v22, s8
	v_mul_f32_e32 v23, v27, v22
	v_mul_f32_e32 v22, 0x3fb8aa3b, v23
	v_ldexp_f32 v14, v49, v50
	v_fma_f32 v49, v23, s9, -v22
	v_rndne_f32_e32 v50, v22
	v_fmac_f32_e32 v49, 0x32a5705f, v23
	v_sub_f32_e32 v22, v22, v50
	v_add_f32_e32 v22, v22, v49
	v_exp_f32_e32 v49, v22
	v_cvt_i32_f32_e32 v50, v50
	v_cmp_ngt_f32_e32 vcc, s10, v48
	v_mfma_f32_16x16x4_f32 v[30:33], v12, v16, v[30:33]
	s_nop 0
	v_cndmask_b32_e32 v14, 0, v14, vcc
	v_cmp_nlt_f32_e32 vcc, s11, v48
	s_nop 1
	v_cndmask_b32_e32 v22, v119, v14, vcc
	v_ldexp_f32 v14, v49, v50
	v_cmp_ngt_f32_e32 vcc, s10, v23
	s_nop 1
	v_cndmask_b32_e32 v14, 0, v14, vcc
	v_cmp_nlt_f32_e32 vcc, s11, v23
	s_nop 1
	v_cndmask_b32_e32 v23, v119, v14, vcc
	v_pk_add_f32 v[22:23], v[22:23], 1.0 op_sel_hi:[1,0]
	s_nop 0
	v_frexp_mant_f32_e32 v14, v22
	v_rcp_f32_e32 v14, v14
	v_frexp_mant_f32_e32 v48, v23
	v_frexp_exp_i32_f32_e32 v22, v22
	v_rcp_f32_e32 v48, v48
	v_sub_u32_e32 v22, 0, v22
	v_ldexp_f32 v22, v14, v22
	v_frexp_exp_i32_f32_e32 v14, v23
	v_sub_u32_e32 v14, 0, v14
	v_ldexp_f32 v23, v48, v14
	v_pk_mul_f32 v[48:49], v[26:27], v[22:23]
	buffer_store_dwordx4 v[46:49], v6, s[0:3], 0 offen offset:128
	s_waitcnt lgkmcnt(0)
	s_barrier
	ds_write2_b32 v121, v70, v71 offset1:32
	ds_write2_b32 v121, v72, v73 offset0:64 offset1:96
	s_waitcnt lgkmcnt(0)
	s_barrier
	buffer_load_dwordx4 v[46:49], v75, s[12:15], 0 offen offset:256
	buffer_load_dwordx4 v[50:53], v76, s[4:7], 0 offen offset:256
	ds_read_b128 v[54:57], v122
	s_waitcnt vmcnt(1) lgkmcnt(0)
	v_pk_add_f32 v[22:23], v[54:55], v[46:47]
	s_waitcnt vmcnt(0)
	v_pk_add_f32 v[26:27], v[22:23], v[50:51]
	s_nop 0
	v_mul_f32_e32 v14, 0x3d92220c, v26
	v_fma_f32 v14, -v26, v14, s8
	v_mul_f32_e32 v14, v26, v14
	v_mul_f32_e32 v22, 0x3fb8aa3b, v14
	v_fma_f32 v23, v14, s9, -v22
	v_rndne_f32_e32 v24, v22
	v_fmac_f32_e32 v23, 0x32a5705f, v14
	v_sub_f32_e32 v22, v22, v24
	v_add_f32_e32 v22, v22, v23
	v_exp_f32_e32 v28, v22
	v_cvt_i32_f32_e32 v46, v24
	v_mfma_f32_16x16x4_f32 v[22:25], v29, v25, v[58:61]
	v_mul_f32_e32 v29, 0x3d92220c, v27
	v_fma_f32 v29, -v27, v29, s8
	v_mul_f32_e32 v29, v27, v29
	v_ldexp_f32 v28, v28, v46
	v_mul_f32_e32 v46, 0x3fb8aa3b, v29
	v_fma_f32 v47, v29, s9, -v46
	v_rndne_f32_e32 v50, v46
	v_fmac_f32_e32 v47, 0x32a5705f, v29
	v_sub_f32_e32 v46, v46, v50
	v_add_f32_e32 v46, v46, v47
	v_exp_f32_e32 v46, v46
	v_cvt_i32_f32_e32 v47, v50
	v_cmp_ngt_f32_e32 vcc, s10, v14
	v_mfma_f32_16x16x4_f32 v[22:25], v10, v18, v[22:25]
	s_nop 0
	v_cndmask_b32_e32 v28, 0, v28, vcc
	v_cmp_nlt_f32_e32 vcc, s11, v14
	v_ldexp_f32 v14, v46, v47
	v_add_f32_e64 v46, v56, v48
	v_add_f32_e64 v47, v57, v49
	v_cndmask_b32_e32 v28, v119, v28, vcc
	v_cmp_ngt_f32_e32 vcc, s10, v29
	v_pk_add_f32 v[46:47], v[46:47], v[52:53]
	v_mfma_f32_16x16x4_f32 v[22:25], v11, v19, v[22:25]
	v_cndmask_b32_e32 v14, 0, v14, vcc
	v_cmp_nlt_f32_e32 vcc, s11, v29
	v_mul_f32_e32 v18, 0x3d92220c, v46
	v_fma_f32 v18, -v46, v18, s8
	v_cndmask_b32_e32 v29, v119, v14, vcc
	v_pk_add_f32 v[28:29], v[28:29], 1.0 op_sel_hi:[1,0]
	v_mul_f32_e32 v18, v46, v18
	v_frexp_mant_f32_e32 v14, v28
	v_rcp_f32_e32 v14, v14
	v_frexp_exp_i32_f32_e32 v10, v28
	v_sub_u32_e32 v10, 0, v10
	v_cmp_ngt_f32_e32 vcc, s10, v18
	v_ldexp_f32 v28, v14, v10
	v_frexp_mant_f32_e32 v10, v29
	v_frexp_exp_i32_f32_e32 v14, v29
	v_rcp_f32_e32 v10, v10
	v_mul_f32_e32 v29, 0x3fb8aa3b, v18
	v_fma_f32 v48, v18, s9, -v29
	v_rndne_f32_e32 v49, v29
	v_fmac_f32_e32 v48, 0x32a5705f, v18
	v_sub_f32_e32 v29, v29, v49
	v_add_f32_e32 v29, v29, v48
	v_sub_u32_e32 v14, 0, v14
	v_exp_f32_e32 v48, v29
	v_cvt_i32_f32_e32 v49, v49
	v_ldexp_f32 v29, v10, v14
	v_mul_f32_e32 v14, 0x3d92220c, v47
	v_fma_f32 v14, -v47, v14, s8
	v_mul_f32_e32 v14, v47, v14
	v_pk_mul_f32 v[26:27], v[26:27], v[28:29]
	v_mul_f32_e32 v28, 0x3fb8aa3b, v14
	v_ldexp_f32 v10, v48, v49
	v_fma_f32 v29, v14, s9, -v28
	v_rndne_f32_e32 v48, v28
	v_fmac_f32_e32 v29, 0x32a5705f, v14
	v_sub_f32_e32 v28, v28, v48
	v_add_f32_e32 v28, v28, v29
	v_exp_f32_e32 v29, v28
	v_cvt_i32_f32_e32 v48, v48
	v_cndmask_b32_e32 v10, 0, v10, vcc
	v_cmp_nlt_f32_e32 vcc, s11, v18
	v_mfma_f32_16x16x4_f32 v[22:25], v12, v20, v[22:25]
	s_nop 0
	v_cndmask_b32_e32 v28, v119, v10, vcc
	v_ldexp_f32 v10, v29, v48
	v_cmp_ngt_f32_e32 vcc, s10, v14
	s_nop 1
	v_cndmask_b32_e32 v10, 0, v10, vcc
	v_cmp_nlt_f32_e32 vcc, s11, v14
	s_nop 1
	v_cndmask_b32_e32 v29, v119, v10, vcc
	v_pk_add_f32 v[28:29], v[28:29], 1.0 op_sel_hi:[1,0]
	s_nop 0
	v_frexp_mant_f32_e32 v10, v28
	v_rcp_f32_e32 v10, v10
	v_frexp_mant_f32_e32 v18, v29
	v_frexp_exp_i32_f32_e32 v14, v28
	v_rcp_f32_e32 v18, v18
	v_sub_u32_e32 v14, 0, v14
	v_ldexp_f32 v28, v10, v14
	v_frexp_exp_i32_f32_e32 v10, v29
	v_sub_u32_e32 v10, 0, v10
	v_ldexp_f32 v29, v18, v10
	v_add_u32_e32 v10, 0x60, v2
	v_pk_mul_f32 v[28:29], v[46:47], v[28:29]
	v_add_u32_e32 v14, 0x60, v1
	v_lshlrev_b32_e32 v18, 2, v10
	buffer_store_dwordx4 v[26:29], v6, s[0:3], 0 offen offset:256
	s_waitcnt lgkmcnt(0)
	s_barrier
	ds_write2_b32 v121, v42, v43 offset1:32
	ds_write2_b32 v121, v44, v45 offset0:64 offset1:96
	s_waitcnt lgkmcnt(0)
	s_barrier
	buffer_load_dwordx2 v[42:43], v18, s[12:15], 0 offen
	v_lshlrev_b32_e32 v18, 2, v14
	buffer_load_dwordx2 v[44:45], v18, s[4:7], 0 offen
	buffer_load_dwordx2 v[46:47], v75, s[12:15], 0 offen offset:392
	buffer_load_dwordx2 v[48:49], v76, s[4:7], 0 offen offset:392
	ds_read_b128 v[26:29], v122
	v_add_lshl_u32 v10, v10, s18, 2
	v_add_lshl_u32 v2, v2, s18, 2
	;; [unrolled: 1-line block ×3, first 2 shown]
	s_waitcnt vmcnt(3) lgkmcnt(0)
	v_pk_add_f32 v[18:19], v[26:27], v[42:43]
	s_waitcnt vmcnt(2)
	v_pk_add_f32 v[26:27], v[18:19], v[44:45]
	s_nop 0
	v_mul_f32_e32 v18, 0x3d92220c, v26
	v_fma_f32 v18, -v26, v18, s8
	v_mul_f32_e32 v42, v26, v18
	v_mul_f32_e32 v18, 0x3fb8aa3b, v42
	v_fma_f32 v19, v42, s9, -v18
	v_rndne_f32_e32 v20, v18
	v_fmac_f32_e32 v19, 0x32a5705f, v42
	v_sub_f32_e32 v18, v18, v20
	v_add_f32_e32 v18, v18, v19
	v_exp_f32_e32 v43, v18
	v_cvt_i32_f32_e32 v44, v20
	v_mfma_f32_16x16x4_f32 v[18:21], v13, v21, v[22:25]
	v_mul_f32_e32 v23, 0x3d92220c, v27
	v_fma_f32 v23, -v27, v23, s8
	v_mul_f32_e32 v23, v27, v23
	v_mul_f32_e32 v24, 0x3fb8aa3b, v23
	v_ldexp_f32 v22, v43, v44
	v_fma_f32 v25, v23, s9, -v24
	v_rndne_f32_e32 v43, v24
	v_fmac_f32_e32 v25, 0x32a5705f, v23
	v_sub_f32_e32 v24, v24, v43
	v_add_f32_e32 v24, v24, v25
	v_exp_f32_e32 v24, v24
	v_cvt_i32_f32_e32 v25, v43
	v_cmp_ngt_f32_e32 vcc, s10, v42
	v_add_u32_e32 v45, 0x60, v0
	v_ldexp_f32 v24, v24, v25
	v_cndmask_b32_e32 v22, 0, v22, vcc
	v_cmp_nlt_f32_e32 vcc, s11, v42
	s_nop 1
	v_cndmask_b32_e32 v22, v119, v22, vcc
	v_cmp_ngt_f32_e32 vcc, s10, v23
	s_nop 1
	v_cndmask_b32_e32 v24, 0, v24, vcc
	v_cmp_nlt_f32_e32 vcc, s11, v23
	s_nop 1
	v_cndmask_b32_e32 v23, v119, v24, vcc
	v_pk_add_f32 v[22:23], v[22:23], 1.0 op_sel_hi:[1,0]
	s_nop 0
	v_frexp_mant_f32_e32 v24, v22
	v_frexp_mant_f32_e32 v25, v23
	v_rcp_f32_e32 v24, v24
	v_rcp_f32_e32 v25, v25
	v_frexp_exp_i32_f32_e32 v22, v22
	v_frexp_exp_i32_f32_e32 v23, v23
	v_sub_u32_e32 v22, 0, v22
	v_sub_u32_e32 v23, 0, v23
	v_ldexp_f32 v22, v24, v22
	v_ldexp_f32 v23, v25, v23
	s_waitcnt vmcnt(1)
	v_pk_add_f32 v[24:25], v[28:29], v[46:47]
	v_pk_mul_f32 v[22:23], v[26:27], v[22:23]
	s_waitcnt vmcnt(0)
	v_pk_add_f32 v[24:25], v[24:25], v[48:49]
	v_lshlrev_b32_e32 v26, 2, v45
	v_mul_f32_e32 v28, 0x3d92220c, v24
	v_fma_f32 v28, -v24, v28, s8
	v_mul_f32_e32 v28, v24, v28
	v_mul_f32_e32 v29, 0x3fb8aa3b, v28
	v_fma_f32 v42, v28, s9, -v29
	v_rndne_f32_e32 v43, v29
	v_fmac_f32_e32 v42, 0x32a5705f, v28
	v_sub_f32_e32 v29, v29, v43
	v_add_f32_e32 v29, v29, v42
	v_exp_f32_e32 v29, v29
	v_cvt_i32_f32_e32 v42, v43
	buffer_store_dwordx2 v[22:23], v26, s[0:3], 0 offen
	v_mul_f32_e32 v23, 0x3d92220c, v25
	v_fma_f32 v23, -v25, v23, s8
	v_mul_f32_e32 v23, v25, v23
	v_mul_f32_e32 v26, 0x3fb8aa3b, v23
	v_ldexp_f32 v22, v29, v42
	v_fma_f32 v27, v23, s9, -v26
	v_rndne_f32_e32 v29, v26
	v_fmac_f32_e32 v27, 0x32a5705f, v23
	v_sub_f32_e32 v26, v26, v29
	v_add_f32_e32 v26, v26, v27
	v_exp_f32_e32 v26, v26
	v_cvt_i32_f32_e32 v27, v29
	v_cmp_ngt_f32_e32 vcc, s10, v28
	v_add_lshl_u32 v42, v14, s17, 2
	v_ldexp_f32 v26, v26, v27
	v_cndmask_b32_e32 v22, 0, v22, vcc
	v_cmp_nlt_f32_e32 vcc, s11, v28
	s_nop 1
	v_cndmask_b32_e32 v22, v119, v22, vcc
	v_cmp_ngt_f32_e32 vcc, s10, v23
	s_nop 1
	v_cndmask_b32_e32 v26, 0, v26, vcc
	v_cmp_nlt_f32_e32 vcc, s11, v23
	s_nop 1
	v_cndmask_b32_e32 v23, v119, v26, vcc
	v_pk_add_f32 v[22:23], v[22:23], 1.0 op_sel_hi:[1,0]
	s_nop 0
	v_frexp_mant_f32_e32 v26, v22
	v_frexp_mant_f32_e32 v27, v23
	v_rcp_f32_e32 v26, v26
	v_rcp_f32_e32 v27, v27
	v_frexp_exp_i32_f32_e32 v22, v22
	v_frexp_exp_i32_f32_e32 v23, v23
	v_sub_u32_e32 v22, 0, v22
	v_sub_u32_e32 v23, 0, v23
	v_ldexp_f32 v22, v26, v22
	v_ldexp_f32 v23, v27, v23
	v_pk_mul_f32 v[22:23], v[24:25], v[22:23]
	buffer_store_dwordx2 v[22:23], v6, s[0:3], 0 offen offset:392
	s_waitcnt lgkmcnt(0)
	s_barrier
	ds_write2_b32 v121, v18, v19 offset1:32
	ds_write2_b32 v121, v20, v21 offset0:64 offset1:96
	s_waitcnt lgkmcnt(0)
	s_barrier
	buffer_load_dwordx4 v[18:21], v10, s[12:15], 0 offen
	buffer_load_dwordx4 v[22:25], v42, s[4:7], 0 offen
	ds_read_b128 v[26:29], v122
	s_waitcnt vmcnt(1) lgkmcnt(0)
	v_pk_add_f32 v[14:15], v[26:27], v[18:19]
	s_waitcnt vmcnt(0)
	v_pk_add_f32 v[18:19], v[14:15], v[22:23]
	v_pk_add_f32 v[20:21], v[28:29], v[20:21]
	v_mul_f32_e32 v6, 0x3d92220c, v18
	v_fma_f32 v6, -v18, v6, s8
	v_mul_f32_e32 v6, v18, v6
	v_mul_f32_e32 v14, 0x3fb8aa3b, v6
	v_fma_f32 v15, v6, s9, -v14
	v_rndne_f32_e32 v22, v14
	v_fmac_f32_e32 v15, 0x32a5705f, v6
	v_sub_f32_e32 v14, v14, v22
	v_add_f32_e32 v14, v14, v15
	v_exp_f32_e32 v14, v14
	v_cvt_i32_f32_e32 v15, v22
	v_cmp_ngt_f32_e32 vcc, s10, v6
	v_pk_add_f32 v[20:21], v[20:21], v[24:25]
	v_ldexp_f32 v14, v14, v15
	v_mul_f32_e32 v15, 0x3d92220c, v19
	v_fma_f32 v15, -v19, v15, s8
	v_mul_f32_e32 v15, v19, v15
	v_mul_f32_e32 v16, 0x3fb8aa3b, v15
	v_fma_f32 v22, v15, s9, -v16
	v_rndne_f32_e32 v23, v16
	v_fmac_f32_e32 v22, 0x32a5705f, v15
	v_sub_f32_e32 v16, v16, v23
	v_add_f32_e32 v16, v16, v22
	v_exp_f32_e32 v16, v16
	v_cvt_i32_f32_e32 v22, v23
	v_cndmask_b32_e32 v14, 0, v14, vcc
	v_cmp_nlt_f32_e32 vcc, s11, v6
	v_mul_f32_e32 v24, 0x3d92220c, v20
	v_ldexp_f32 v6, v16, v22
	v_cndmask_b32_e32 v14, v119, v14, vcc
	v_cmp_ngt_f32_e32 vcc, s10, v15
	v_fma_f32 v24, -v20, v24, s8
	v_mul_f32_e32 v24, v20, v24
	v_cndmask_b32_e32 v6, 0, v6, vcc
	v_cmp_nlt_f32_e32 vcc, s11, v15
	v_mul_f32_e32 v25, 0x3fb8aa3b, v24
	v_fma_f32 v26, v24, s9, -v25
	v_cndmask_b32_e32 v15, v119, v6, vcc
	v_pk_add_f32 v[22:23], v[14:15], 1.0 op_sel_hi:[1,0]
	v_rndne_f32_e32 v27, v25
	v_frexp_mant_f32_e32 v6, v22
	v_rcp_f32_e32 v6, v6
	v_frexp_exp_i32_f32_e32 v22, v22
	v_sub_u32_e32 v22, 0, v22
	v_fmac_f32_e32 v26, 0x32a5705f, v24
	v_ldexp_f32 v22, v6, v22
	v_frexp_mant_f32_e32 v6, v23
	v_rcp_f32_e32 v6, v6
	v_frexp_exp_i32_f32_e32 v23, v23
	v_sub_u32_e32 v23, 0, v23
	v_sub_f32_e32 v25, v25, v27
	v_add_f32_e32 v25, v25, v26
	v_ldexp_f32 v23, v6, v23
	v_exp_f32_e32 v25, v25
	v_cvt_i32_f32_e32 v26, v27
	v_pk_mul_f32 v[18:19], v[18:19], v[22:23]
	v_mul_f32_e32 v22, 0x3d92220c, v21
	v_fma_f32 v22, -v21, v22, s8
	v_mul_f32_e32 v23, v21, v22
	v_mul_f32_e32 v22, 0x3fb8aa3b, v23
	v_ldexp_f32 v6, v25, v26
	v_fma_f32 v25, v23, s9, -v22
	v_rndne_f32_e32 v26, v22
	v_fmac_f32_e32 v25, 0x32a5705f, v23
	v_sub_f32_e32 v22, v22, v26
	v_add_f32_e32 v22, v22, v25
	v_exp_f32_e32 v25, v22
	v_cvt_i32_f32_e32 v26, v26
	v_cmp_ngt_f32_e32 vcc, s10, v24
	v_mfma_f32_16x16x4_f32 v[14:17], v13, v17, v[30:33]
	v_add_lshl_u32 v30, v45, s16, 2
	v_cndmask_b32_e32 v6, 0, v6, vcc
	v_cmp_nlt_f32_e32 vcc, s11, v24
	s_nop 1
	v_cndmask_b32_e32 v22, v119, v6, vcc
	v_ldexp_f32 v6, v25, v26
	v_cmp_ngt_f32_e32 vcc, s10, v23
	s_nop 1
	v_cndmask_b32_e32 v6, 0, v6, vcc
	v_cmp_nlt_f32_e32 vcc, s11, v23
	s_nop 1
	v_cndmask_b32_e32 v23, v119, v6, vcc
	v_pk_add_f32 v[22:23], v[22:23], 1.0 op_sel_hi:[1,0]
	s_nop 0
	v_frexp_mant_f32_e32 v6, v22
	v_rcp_f32_e32 v6, v6
	v_frexp_mant_f32_e32 v24, v23
	v_frexp_exp_i32_f32_e32 v22, v22
	v_rcp_f32_e32 v24, v24
	v_sub_u32_e32 v22, 0, v22
	v_ldexp_f32 v22, v6, v22
	v_frexp_exp_i32_f32_e32 v6, v23
	v_sub_u32_e32 v6, 0, v6
	v_ldexp_f32 v23, v24, v6
	v_pk_mul_f32 v[20:21], v[20:21], v[22:23]
	v_add_u32_e32 v6, 0xffffff80, v10
	buffer_store_dwordx4 v[18:21], v30, s[0:3], 0 offen
	s_waitcnt lgkmcnt(0)
	s_barrier
	ds_write2_b32 v121, v14, v15 offset1:32
	ds_write2_b32 v121, v16, v17 offset0:64 offset1:96
	s_waitcnt lgkmcnt(0)
	s_barrier
	buffer_load_dwordx2 v[22:23], v6, s[12:15], 0 offen
	v_add_u32_e32 v6, 0xffffff80, v42
	buffer_load_dwordx2 v[24:25], v6, s[4:7], 0 offen
	v_add_u32_e32 v6, 0xffffff88, v10
	;; [unrolled: 2-line block ×3, first 2 shown]
	buffer_load_dwordx2 v[28:29], v6, s[4:7], 0 offen
	v_mfma_f32_16x16x4_f32 v[14:17], v11, v7, v[34:37]
	ds_read_b128 v[18:21], v122
	s_waitcnt vmcnt(3) lgkmcnt(0)
	v_add_f32_e64 v6, v18, v22
	v_add_f32_e64 v7, v19, v23
	v_mfma_f32_16x16x4_f32 v[14:17], v12, v8, v[14:17]
	s_waitcnt vmcnt(2)
	v_add_f32_e64 v18, v6, v24
	v_add_f32_e64 v19, v7, v25
	v_mul_f32_e32 v6, 0x3d92220c, v18
	v_fma_f32 v6, -v18, v6, s8
	v_mul_f32_e32 v22, v18, v6
	v_mul_f32_e32 v6, 0x3fb8aa3b, v22
	v_fma_f32 v7, v22, s9, -v6
	v_rndne_f32_e32 v8, v6
	v_fmac_f32_e32 v7, 0x32a5705f, v22
	v_sub_f32_e32 v6, v6, v8
	v_add_f32_e32 v6, v6, v7
	v_exp_f32_e32 v23, v6
	v_cvt_i32_f32_e32 v24, v8
	v_mfma_f32_16x16x4_f32 v[6:9], v13, v9, v[14:17]
	v_mul_f32_e32 v15, 0x3d92220c, v19
	v_fma_f32 v15, -v19, v15, s8
	v_mul_f32_e32 v15, v19, v15
	v_mul_f32_e32 v16, 0x3fb8aa3b, v15
	v_ldexp_f32 v14, v23, v24
	v_fma_f32 v17, v15, s9, -v16
	v_rndne_f32_e32 v23, v16
	v_fmac_f32_e32 v17, 0x32a5705f, v15
	v_sub_f32_e32 v16, v16, v23
	v_add_f32_e32 v16, v16, v17
	v_exp_f32_e32 v16, v16
	v_cvt_i32_f32_e32 v17, v23
	v_cmp_ngt_f32_e32 vcc, s10, v22
	v_ldexp_f32 v16, v16, v17
	s_nop 0
	v_cndmask_b32_e32 v14, 0, v14, vcc
	v_cmp_nlt_f32_e32 vcc, s11, v22
	s_nop 1
	v_cndmask_b32_e32 v14, v119, v14, vcc
	v_cmp_ngt_f32_e32 vcc, s10, v15
	s_nop 1
	v_cndmask_b32_e32 v16, 0, v16, vcc
	v_cmp_nlt_f32_e32 vcc, s11, v15
	s_nop 1
	v_cndmask_b32_e32 v15, v119, v16, vcc
	v_pk_add_f32 v[14:15], v[14:15], 1.0 op_sel_hi:[1,0]
	s_nop 0
	v_frexp_mant_f32_e32 v16, v14
	v_frexp_mant_f32_e32 v17, v15
	v_rcp_f32_e32 v16, v16
	v_rcp_f32_e32 v17, v17
	v_frexp_exp_i32_f32_e32 v14, v14
	v_frexp_exp_i32_f32_e32 v15, v15
	v_sub_u32_e32 v14, 0, v14
	v_sub_u32_e32 v15, 0, v15
	v_ldexp_f32 v14, v16, v14
	v_ldexp_f32 v15, v17, v15
	s_waitcnt vmcnt(1)
	v_pk_add_f32 v[16:17], v[20:21], v[26:27]
	v_pk_mul_f32 v[14:15], v[18:19], v[14:15]
	s_waitcnt vmcnt(0)
	v_pk_add_f32 v[16:17], v[16:17], v[28:29]
	v_add_u32_e32 v18, 0xffffff80, v30
	v_mul_f32_e32 v20, 0x3d92220c, v16
	v_fma_f32 v20, -v16, v20, s8
	v_mul_f32_e32 v20, v16, v20
	v_mul_f32_e32 v21, 0x3fb8aa3b, v20
	v_fma_f32 v22, v20, s9, -v21
	v_rndne_f32_e32 v23, v21
	v_fmac_f32_e32 v22, 0x32a5705f, v20
	v_sub_f32_e32 v21, v21, v23
	v_add_f32_e32 v21, v21, v22
	v_exp_f32_e32 v21, v21
	v_cvt_i32_f32_e32 v22, v23
	buffer_store_dwordx2 v[14:15], v18, s[0:3], 0 offen
	v_mul_f32_e32 v15, 0x3d92220c, v17
	v_fma_f32 v15, -v17, v15, s8
	v_mul_f32_e32 v15, v17, v15
	v_mul_f32_e32 v18, 0x3fb8aa3b, v15
	v_ldexp_f32 v14, v21, v22
	v_fma_f32 v19, v15, s9, -v18
	v_rndne_f32_e32 v21, v18
	v_fmac_f32_e32 v19, 0x32a5705f, v15
	v_sub_f32_e32 v18, v18, v21
	v_add_f32_e32 v18, v18, v19
	v_exp_f32_e32 v18, v18
	v_cvt_i32_f32_e32 v19, v21
	v_cmp_ngt_f32_e32 vcc, s10, v20
	v_ldexp_f32 v18, v18, v19
	s_nop 0
	v_cndmask_b32_e32 v14, 0, v14, vcc
	v_cmp_nlt_f32_e32 vcc, s11, v20
	s_nop 1
	v_cndmask_b32_e32 v14, v119, v14, vcc
	v_cmp_ngt_f32_e32 vcc, s10, v15
	s_nop 1
	v_cndmask_b32_e32 v18, 0, v18, vcc
	v_cmp_nlt_f32_e32 vcc, s11, v15
	s_nop 1
	v_cndmask_b32_e32 v15, v119, v18, vcc
	v_pk_add_f32 v[14:15], v[14:15], 1.0 op_sel_hi:[1,0]
	s_nop 0
	v_frexp_mant_f32_e32 v18, v14
	v_frexp_mant_f32_e32 v19, v15
	v_rcp_f32_e32 v18, v18
	v_rcp_f32_e32 v19, v19
	v_frexp_exp_i32_f32_e32 v14, v14
	v_frexp_exp_i32_f32_e32 v15, v15
	v_sub_u32_e32 v14, 0, v14
	v_sub_u32_e32 v15, 0, v15
	v_ldexp_f32 v14, v18, v14
	v_ldexp_f32 v15, v19, v15
	v_pk_mul_f32 v[14:15], v[16:17], v[14:15]
	v_add_u32_e32 v16, 0xffffff88, v30
	buffer_store_dwordx2 v[14:15], v16, s[0:3], 0 offen
	s_waitcnt lgkmcnt(0)
	s_barrier
	ds_write2_b32 v121, v6, v7 offset1:32
	ds_write2_b32 v121, v8, v9 offset0:64 offset1:96
	v_add_u32_e32 v6, 0xffffff00, v10
	s_waitcnt lgkmcnt(0)
	s_barrier
	buffer_load_dwordx2 v[18:19], v6, s[12:15], 0 offen
	v_add_u32_e32 v6, 0xffffff00, v42
	buffer_load_dwordx2 v[20:21], v6, s[4:7], 0 offen
	v_mfma_f32_16x16x4_f32 v[6:9], v11, v3, v[38:41]
	v_add_u32_e32 v3, 0xffffff08, v10
	buffer_load_dwordx2 v[10:11], v3, s[12:15], 0 offen
	v_add_u32_e32 v3, 0xffffff08, v42
	buffer_load_dwordx2 v[22:23], v3, s[4:7], 0 offen
	ds_read_b128 v[14:17], v122
	s_waitcnt vmcnt(3) lgkmcnt(0)
	v_pk_add_f32 v[14:15], v[14:15], v[18:19]
	v_mfma_f32_16x16x4_f32 v[6:9], v12, v4, v[6:9]
	s_waitcnt vmcnt(2)
	v_add_f32_e64 v14, v14, v20
	v_add_f32_e64 v15, v15, v21
	s_waitcnt vmcnt(1)
	v_add_f32_e64 v10, v16, v10
	v_add_f32_e64 v11, v17, v11
	v_mul_f32_e32 v3, 0x3d92220c, v14
	v_fma_f32 v3, -v14, v3, s8
	v_mul_f32_e32 v3, v14, v3
	v_mul_f32_e32 v4, 0x3fb8aa3b, v3
	v_fma_f32 v12, v3, s9, -v4
	v_rndne_f32_e32 v18, v4
	v_fmac_f32_e32 v12, 0x32a5705f, v3
	v_sub_f32_e32 v4, v4, v18
	v_add_f32_e32 v4, v4, v12
	v_exp_f32_e32 v12, v4
	v_cvt_i32_f32_e32 v18, v18
	v_mfma_f32_16x16x4_f32 v[4:7], v13, v5, v[6:9]
	v_mul_f32_e32 v9, 0x3d92220c, v15
	v_fma_f32 v9, -v15, v9, s8
	v_mul_f32_e32 v9, v15, v9
	v_ldexp_f32 v8, v12, v18
	v_mul_f32_e32 v12, 0x3fb8aa3b, v9
	v_fma_f32 v13, v9, s9, -v12
	v_rndne_f32_e32 v18, v12
	v_fmac_f32_e32 v13, 0x32a5705f, v9
	v_sub_f32_e32 v12, v12, v18
	v_add_f32_e32 v12, v12, v13
	v_exp_f32_e32 v12, v12
	v_cvt_i32_f32_e32 v13, v18
	v_cmp_ngt_f32_e32 vcc, s10, v3
	s_waitcnt vmcnt(0)
	v_pk_add_f32 v[10:11], v[10:11], v[22:23]
	v_cndmask_b32_e32 v8, 0, v8, vcc
	v_cmp_nlt_f32_e32 vcc, s11, v3
	v_ldexp_f32 v3, v12, v13
	s_nop 0
	v_cndmask_b32_e32 v8, v119, v8, vcc
	v_cmp_ngt_f32_e32 vcc, s10, v9
	s_nop 1
	v_cndmask_b32_e32 v3, 0, v3, vcc
	v_cmp_nlt_f32_e32 vcc, s11, v9
	s_nop 1
	v_cndmask_b32_e32 v9, v119, v3, vcc
	v_pk_add_f32 v[8:9], v[8:9], 1.0 op_sel_hi:[1,0]
	s_nop 0
	v_frexp_mant_f32_e32 v3, v8
	v_rcp_f32_e32 v3, v3
	v_frexp_mant_f32_e32 v12, v9
	v_frexp_exp_i32_f32_e32 v8, v8
	v_rcp_f32_e32 v12, v12
	v_sub_u32_e32 v8, 0, v8
	v_ldexp_f32 v8, v3, v8
	v_frexp_exp_i32_f32_e32 v3, v9
	v_sub_u32_e32 v3, 0, v3
	v_ldexp_f32 v9, v12, v3
	v_mul_f32_e32 v3, 0x3d92220c, v10
	v_fma_f32 v3, -v10, v3, s8
	v_mul_f32_e32 v3, v10, v3
	v_mul_f32_e32 v12, 0x3fb8aa3b, v3
	v_fma_f32 v13, v3, s9, -v12
	v_rndne_f32_e32 v16, v12
	v_fmac_f32_e32 v13, 0x32a5705f, v3
	v_sub_f32_e32 v12, v12, v16
	v_add_f32_e32 v12, v12, v13
	v_exp_f32_e32 v12, v12
	v_cvt_i32_f32_e32 v13, v16
	v_pk_mul_f32 v[8:9], v[14:15], v[8:9]
	v_add_u32_e32 v14, 0xffffff00, v30
	buffer_store_dwordx2 v[8:9], v14, s[0:3], 0 offen
	v_mul_f32_e32 v9, 0x3d92220c, v11
	v_fma_f32 v9, -v11, v9, s8
	v_mul_f32_e32 v9, v11, v9
	v_ldexp_f32 v8, v12, v13
	v_mul_f32_e32 v12, 0x3fb8aa3b, v9
	v_fma_f32 v13, v9, s9, -v12
	v_rndne_f32_e32 v14, v12
	v_fmac_f32_e32 v13, 0x32a5705f, v9
	v_sub_f32_e32 v12, v12, v14
	v_add_f32_e32 v12, v12, v13
	v_exp_f32_e32 v12, v12
	v_cvt_i32_f32_e32 v13, v14
	v_cmp_ngt_f32_e32 vcc, s10, v3
	s_nop 1
	v_cndmask_b32_e32 v8, 0, v8, vcc
	v_cmp_nlt_f32_e32 vcc, s11, v3
	v_ldexp_f32 v3, v12, v13
	s_nop 0
	v_cndmask_b32_e32 v8, v119, v8, vcc
	v_cmp_ngt_f32_e32 vcc, s10, v9
	s_nop 1
	v_cndmask_b32_e32 v3, 0, v3, vcc
	v_cmp_nlt_f32_e32 vcc, s11, v9
	s_nop 1
	v_cndmask_b32_e32 v9, v119, v3, vcc
	v_pk_add_f32 v[8:9], v[8:9], 1.0 op_sel_hi:[1,0]
	s_nop 0
	v_frexp_mant_f32_e32 v3, v8
	v_rcp_f32_e32 v3, v3
	v_frexp_mant_f32_e32 v12, v9
	v_frexp_exp_i32_f32_e32 v8, v8
	v_rcp_f32_e32 v12, v12
	v_sub_u32_e32 v8, 0, v8
	v_ldexp_f32 v8, v3, v8
	v_frexp_exp_i32_f32_e32 v3, v9
	v_sub_u32_e32 v3, 0, v3
	v_ldexp_f32 v9, v12, v3
	v_pk_mul_f32 v[8:9], v[10:11], v[8:9]
	v_add_u32_e32 v3, 0xffffff08, v30
	buffer_store_dwordx2 v[8:9], v3, s[0:3], 0 offen
	s_waitcnt lgkmcnt(0)
	s_barrier
	ds_write2_b32 v121, v4, v5 offset1:32
	ds_write2_b32 v121, v6, v7 offset0:64 offset1:96
	s_waitcnt lgkmcnt(0)
	s_barrier
	buffer_load_dwordx4 v[2:5], v2, s[12:15], 0 offen
	ds_read_b128 v[10:13], v122
	buffer_load_dwordx4 v[6:9], v1, s[4:7], 0 offen
	s_waitcnt vmcnt(1) lgkmcnt(0)
	v_pk_add_f32 v[2:3], v[10:11], v[2:3]
	v_pk_add_f32 v[4:5], v[12:13], v[4:5]
	s_waitcnt vmcnt(0)
	v_pk_add_f32 v[2:3], v[2:3], v[6:7]
	v_pk_add_f32 v[4:5], v[4:5], v[8:9]
	v_mul_f32_e32 v1, 0x3d92220c, v2
	v_fma_f32 v1, -v2, v1, s8
	v_mul_f32_e32 v1, v2, v1
	v_mul_f32_e32 v6, 0x3fb8aa3b, v1
	v_fma_f32 v7, v1, s9, -v6
	v_rndne_f32_e32 v10, v6
	v_fmac_f32_e32 v7, 0x32a5705f, v1
	v_sub_f32_e32 v6, v6, v10
	v_add_f32_e32 v6, v6, v7
	v_exp_f32_e32 v6, v6
	v_cvt_i32_f32_e32 v7, v10
	v_cmp_ngt_f32_e32 vcc, s10, v1
	v_mul_f32_e32 v8, 0x3d92220c, v4
	v_fma_f32 v8, -v4, v8, s8
	v_ldexp_f32 v6, v6, v7
	v_mul_f32_e32 v7, 0x3d92220c, v3
	v_fma_f32 v7, -v3, v7, s8
	v_mul_f32_e32 v7, v3, v7
	v_mul_f32_e32 v10, 0x3fb8aa3b, v7
	v_fma_f32 v11, v7, s9, -v10
	v_rndne_f32_e32 v14, v10
	v_fmac_f32_e32 v11, 0x32a5705f, v7
	v_sub_f32_e32 v10, v10, v14
	v_add_f32_e32 v10, v10, v11
	v_exp_f32_e32 v10, v10
	v_cvt_i32_f32_e32 v11, v14
	v_cndmask_b32_e32 v6, 0, v6, vcc
	v_cmp_nlt_f32_e32 vcc, s11, v1
	v_mul_f32_e32 v8, v4, v8
	v_ldexp_f32 v1, v10, v11
	v_cndmask_b32_e32 v6, v119, v6, vcc
	v_cmp_ngt_f32_e32 vcc, s10, v7
	v_mul_f32_e32 v9, 0x3fb8aa3b, v8
	v_fma_f32 v10, v8, s9, -v9
	v_cndmask_b32_e32 v1, 0, v1, vcc
	v_cmp_nlt_f32_e32 vcc, s11, v7
	v_rndne_f32_e32 v11, v9
	v_fmac_f32_e32 v10, 0x32a5705f, v8
	v_cndmask_b32_e32 v7, v119, v1, vcc
	v_pk_add_f32 v[6:7], v[6:7], 1.0 op_sel_hi:[1,0]
	v_sub_f32_e32 v9, v9, v11
	v_frexp_mant_f32_e32 v1, v6
	v_rcp_f32_e32 v1, v1
	v_frexp_exp_i32_f32_e32 v6, v6
	v_sub_u32_e32 v6, 0, v6
	v_add_f32_e32 v9, v9, v10
	v_ldexp_f32 v6, v1, v6
	v_frexp_mant_f32_e32 v1, v7
	v_rcp_f32_e32 v1, v1
	v_frexp_exp_i32_f32_e32 v7, v7
	v_sub_u32_e32 v7, 0, v7
	v_exp_f32_e32 v9, v9
	v_cvt_i32_f32_e32 v10, v11
	v_ldexp_f32 v7, v1, v7
	v_mul_f32_e32 v1, 0x3d92220c, v5
	v_fma_f32 v1, -v5, v1, s8
	v_mul_f32_e32 v1, v5, v1
	v_pk_mul_f32 v[2:3], v[2:3], v[6:7]
	v_mul_f32_e32 v7, 0x3fb8aa3b, v1
	v_add_lshl_u32 v6, v0, s16, 2
	v_ldexp_f32 v0, v9, v10
	v_fma_f32 v9, v1, s9, -v7
	v_rndne_f32_e32 v10, v7
	v_fmac_f32_e32 v9, 0x32a5705f, v1
	v_sub_f32_e32 v7, v7, v10
	v_add_f32_e32 v7, v7, v9
	v_exp_f32_e32 v7, v7
	v_cvt_i32_f32_e32 v9, v10
	v_cmp_ngt_f32_e32 vcc, s10, v8
	v_ldexp_f32 v7, v7, v9
	s_nop 0
	v_cndmask_b32_e32 v0, 0, v0, vcc
	v_cmp_nlt_f32_e32 vcc, s11, v8
	s_nop 1
	v_cndmask_b32_e32 v0, v119, v0, vcc
	v_cmp_ngt_f32_e32 vcc, s10, v1
	s_nop 1
	v_cndmask_b32_e32 v7, 0, v7, vcc
	v_cmp_nlt_f32_e32 vcc, s11, v1
	s_nop 1
	v_cndmask_b32_e32 v1, v119, v7, vcc
	v_pk_add_f32 v[0:1], v[0:1], 1.0 op_sel_hi:[1,0]
	s_nop 0
	v_frexp_mant_f32_e32 v7, v0
	v_frexp_mant_f32_e32 v8, v1
	v_rcp_f32_e32 v7, v7
	v_rcp_f32_e32 v8, v8
	v_frexp_exp_i32_f32_e32 v0, v0
	v_frexp_exp_i32_f32_e32 v1, v1
	v_sub_u32_e32 v0, 0, v0
	v_sub_u32_e32 v1, 0, v1
	v_ldexp_f32 v0, v7, v0
	v_ldexp_f32 v1, v8, v1
	v_pk_mul_f32 v[4:5], v[4:5], v[0:1]
	buffer_store_dwordx4 v[2:5], v6, s[0:3], 0 offen
	s_endpgm
	.section	.rodata,"a",@progbits
	.p2align	6, 0x0
	.amdhsa_kernel _ZN2ck35kernel_gemm_multiple_d_xdl_cshuffleINS_34GridwiseGemmMultipleD_xdl_cshuffleIfffffNS_5TupleIJffEEEfNS_16tensor_operation12element_wise11PassThroughES6_NS5_14AddAddFastGeluELi1ELi256ELi256ELi128ELi32ELi8ELi8ELi16ELi16ELi8ELi4ENS_8SequenceIJLi4ELi64ELi1EEEENS8_IJLi1ELi0ELi2EEEESA_Li2ELi4ELi4ELb0ELi1ES9_SA_SA_Li2ELi4ELi4ELb0ELi1ELi1ELi1ENS8_IJLi1ELi32ELi1ELi8EEEELi2ELNS_13LoopSchedulerE0ELNS_15PipelineVersionE0EfLb0EEEffNS2_IJPKfSG_EEEfS6_S6_S7_NS_16TensorDescriptorINS2_IJNS_5EmbedINS2_IJiiEEENS2_IJiNS_17integral_constantIiLi1EEEEEELb0EEENS_11PassThroughIiEESQ_NS_7UnMergeINS2_IJiNSL_IiLi8EEEEEELb0EEESQ_EEENS2_IJNS8_IJLi0EEEENS8_IJLi1EEEENS8_IJLi2EEEENS8_IJLi4EEEENS8_IJLi3EEEEEEENS2_IJNS8_IJLi1ELi2EEEES10_SZ_NS8_IJLi5ELi6EEEENS8_IJLi7EEEEEEENS8_IJLi5ELi7ELi6EEEElEES17_NS2_IJNSI_INS2_IJSO_SQ_SQ_NSR_INS2_IJiNSL_IiLi256EEEEEELb0EEENSR_INS2_IJiNSL_IiLi128EEEEEELb0EEEEEENS2_IJSW_SX_SY_S10_SZ_EEENS2_IJS12_S10_SZ_S13_NS8_IJLi7ELi8EEEEEEENS8_IJLi5ELi6ELi7ELi8EEEElEES1J_EEES1J_NS_31BlockToCTileMap_M00_N0_M01AdaptILi256ELi128ENSI_INS2_IJSO_SQ_SQ_EEENS2_IJSW_SX_SY_EEENS2_IJS12_S10_SZ_EEENS8_IJLi3ELi4EEEElEEiEELb0EEEvPKT0_PKT1_T2_PT3_T4_T5_T6_T7_T8_T9_T10_T11_
		.amdhsa_group_segment_fixed_size 49344
		.amdhsa_private_segment_fixed_size 0
		.amdhsa_kernarg_size 364
		.amdhsa_user_sgpr_count 2
		.amdhsa_user_sgpr_dispatch_ptr 0
		.amdhsa_user_sgpr_queue_ptr 0
		.amdhsa_user_sgpr_kernarg_segment_ptr 1
		.amdhsa_user_sgpr_dispatch_id 0
		.amdhsa_user_sgpr_kernarg_preload_length 0
		.amdhsa_user_sgpr_kernarg_preload_offset 0
		.amdhsa_user_sgpr_private_segment_size 0
		.amdhsa_uses_dynamic_stack 0
		.amdhsa_enable_private_segment 0
		.amdhsa_system_sgpr_workgroup_id_x 1
		.amdhsa_system_sgpr_workgroup_id_y 0
		.amdhsa_system_sgpr_workgroup_id_z 0
		.amdhsa_system_sgpr_workgroup_info 0
		.amdhsa_system_vgpr_workitem_id 0
		.amdhsa_next_free_vgpr 138
		.amdhsa_next_free_sgpr 96
		.amdhsa_accum_offset 140
		.amdhsa_reserve_vcc 1
		.amdhsa_float_round_mode_32 0
		.amdhsa_float_round_mode_16_64 0
		.amdhsa_float_denorm_mode_32 3
		.amdhsa_float_denorm_mode_16_64 3
		.amdhsa_dx10_clamp 1
		.amdhsa_ieee_mode 1
		.amdhsa_fp16_overflow 0
		.amdhsa_tg_split 0
		.amdhsa_exception_fp_ieee_invalid_op 0
		.amdhsa_exception_fp_denorm_src 0
		.amdhsa_exception_fp_ieee_div_zero 0
		.amdhsa_exception_fp_ieee_overflow 0
		.amdhsa_exception_fp_ieee_underflow 0
		.amdhsa_exception_fp_ieee_inexact 0
		.amdhsa_exception_int_div_zero 0
	.end_amdhsa_kernel
	.section	.text._ZN2ck35kernel_gemm_multiple_d_xdl_cshuffleINS_34GridwiseGemmMultipleD_xdl_cshuffleIfffffNS_5TupleIJffEEEfNS_16tensor_operation12element_wise11PassThroughES6_NS5_14AddAddFastGeluELi1ELi256ELi256ELi128ELi32ELi8ELi8ELi16ELi16ELi8ELi4ENS_8SequenceIJLi4ELi64ELi1EEEENS8_IJLi1ELi0ELi2EEEESA_Li2ELi4ELi4ELb0ELi1ES9_SA_SA_Li2ELi4ELi4ELb0ELi1ELi1ELi1ENS8_IJLi1ELi32ELi1ELi8EEEELi2ELNS_13LoopSchedulerE0ELNS_15PipelineVersionE0EfLb0EEEffNS2_IJPKfSG_EEEfS6_S6_S7_NS_16TensorDescriptorINS2_IJNS_5EmbedINS2_IJiiEEENS2_IJiNS_17integral_constantIiLi1EEEEEELb0EEENS_11PassThroughIiEESQ_NS_7UnMergeINS2_IJiNSL_IiLi8EEEEEELb0EEESQ_EEENS2_IJNS8_IJLi0EEEENS8_IJLi1EEEENS8_IJLi2EEEENS8_IJLi4EEEENS8_IJLi3EEEEEEENS2_IJNS8_IJLi1ELi2EEEES10_SZ_NS8_IJLi5ELi6EEEENS8_IJLi7EEEEEEENS8_IJLi5ELi7ELi6EEEElEES17_NS2_IJNSI_INS2_IJSO_SQ_SQ_NSR_INS2_IJiNSL_IiLi256EEEEEELb0EEENSR_INS2_IJiNSL_IiLi128EEEEEELb0EEEEEENS2_IJSW_SX_SY_S10_SZ_EEENS2_IJS12_S10_SZ_S13_NS8_IJLi7ELi8EEEEEEENS8_IJLi5ELi6ELi7ELi8EEEElEES1J_EEES1J_NS_31BlockToCTileMap_M00_N0_M01AdaptILi256ELi128ENSI_INS2_IJSO_SQ_SQ_EEENS2_IJSW_SX_SY_EEENS2_IJS12_S10_SZ_EEENS8_IJLi3ELi4EEEElEEiEELb0EEEvPKT0_PKT1_T2_PT3_T4_T5_T6_T7_T8_T9_T10_T11_,"axG",@progbits,_ZN2ck35kernel_gemm_multiple_d_xdl_cshuffleINS_34GridwiseGemmMultipleD_xdl_cshuffleIfffffNS_5TupleIJffEEEfNS_16tensor_operation12element_wise11PassThroughES6_NS5_14AddAddFastGeluELi1ELi256ELi256ELi128ELi32ELi8ELi8ELi16ELi16ELi8ELi4ENS_8SequenceIJLi4ELi64ELi1EEEENS8_IJLi1ELi0ELi2EEEESA_Li2ELi4ELi4ELb0ELi1ES9_SA_SA_Li2ELi4ELi4ELb0ELi1ELi1ELi1ENS8_IJLi1ELi32ELi1ELi8EEEELi2ELNS_13LoopSchedulerE0ELNS_15PipelineVersionE0EfLb0EEEffNS2_IJPKfSG_EEEfS6_S6_S7_NS_16TensorDescriptorINS2_IJNS_5EmbedINS2_IJiiEEENS2_IJiNS_17integral_constantIiLi1EEEEEELb0EEENS_11PassThroughIiEESQ_NS_7UnMergeINS2_IJiNSL_IiLi8EEEEEELb0EEESQ_EEENS2_IJNS8_IJLi0EEEENS8_IJLi1EEEENS8_IJLi2EEEENS8_IJLi4EEEENS8_IJLi3EEEEEEENS2_IJNS8_IJLi1ELi2EEEES10_SZ_NS8_IJLi5ELi6EEEENS8_IJLi7EEEEEEENS8_IJLi5ELi7ELi6EEEElEES17_NS2_IJNSI_INS2_IJSO_SQ_SQ_NSR_INS2_IJiNSL_IiLi256EEEEEELb0EEENSR_INS2_IJiNSL_IiLi128EEEEEELb0EEEEEENS2_IJSW_SX_SY_S10_SZ_EEENS2_IJS12_S10_SZ_S13_NS8_IJLi7ELi8EEEEEEENS8_IJLi5ELi6ELi7ELi8EEEElEES1J_EEES1J_NS_31BlockToCTileMap_M00_N0_M01AdaptILi256ELi128ENSI_INS2_IJSO_SQ_SQ_EEENS2_IJSW_SX_SY_EEENS2_IJS12_S10_SZ_EEENS8_IJLi3ELi4EEEElEEiEELb0EEEvPKT0_PKT1_T2_PT3_T4_T5_T6_T7_T8_T9_T10_T11_,comdat
.Lfunc_end2:
	.size	_ZN2ck35kernel_gemm_multiple_d_xdl_cshuffleINS_34GridwiseGemmMultipleD_xdl_cshuffleIfffffNS_5TupleIJffEEEfNS_16tensor_operation12element_wise11PassThroughES6_NS5_14AddAddFastGeluELi1ELi256ELi256ELi128ELi32ELi8ELi8ELi16ELi16ELi8ELi4ENS_8SequenceIJLi4ELi64ELi1EEEENS8_IJLi1ELi0ELi2EEEESA_Li2ELi4ELi4ELb0ELi1ES9_SA_SA_Li2ELi4ELi4ELb0ELi1ELi1ELi1ENS8_IJLi1ELi32ELi1ELi8EEEELi2ELNS_13LoopSchedulerE0ELNS_15PipelineVersionE0EfLb0EEEffNS2_IJPKfSG_EEEfS6_S6_S7_NS_16TensorDescriptorINS2_IJNS_5EmbedINS2_IJiiEEENS2_IJiNS_17integral_constantIiLi1EEEEEELb0EEENS_11PassThroughIiEESQ_NS_7UnMergeINS2_IJiNSL_IiLi8EEEEEELb0EEESQ_EEENS2_IJNS8_IJLi0EEEENS8_IJLi1EEEENS8_IJLi2EEEENS8_IJLi4EEEENS8_IJLi3EEEEEEENS2_IJNS8_IJLi1ELi2EEEES10_SZ_NS8_IJLi5ELi6EEEENS8_IJLi7EEEEEEENS8_IJLi5ELi7ELi6EEEElEES17_NS2_IJNSI_INS2_IJSO_SQ_SQ_NSR_INS2_IJiNSL_IiLi256EEEEEELb0EEENSR_INS2_IJiNSL_IiLi128EEEEEELb0EEEEEENS2_IJSW_SX_SY_S10_SZ_EEENS2_IJS12_S10_SZ_S13_NS8_IJLi7ELi8EEEEEEENS8_IJLi5ELi6ELi7ELi8EEEElEES1J_EEES1J_NS_31BlockToCTileMap_M00_N0_M01AdaptILi256ELi128ENSI_INS2_IJSO_SQ_SQ_EEENS2_IJSW_SX_SY_EEENS2_IJS12_S10_SZ_EEENS8_IJLi3ELi4EEEElEEiEELb0EEEvPKT0_PKT1_T2_PT3_T4_T5_T6_T7_T8_T9_T10_T11_, .Lfunc_end2-_ZN2ck35kernel_gemm_multiple_d_xdl_cshuffleINS_34GridwiseGemmMultipleD_xdl_cshuffleIfffffNS_5TupleIJffEEEfNS_16tensor_operation12element_wise11PassThroughES6_NS5_14AddAddFastGeluELi1ELi256ELi256ELi128ELi32ELi8ELi8ELi16ELi16ELi8ELi4ENS_8SequenceIJLi4ELi64ELi1EEEENS8_IJLi1ELi0ELi2EEEESA_Li2ELi4ELi4ELb0ELi1ES9_SA_SA_Li2ELi4ELi4ELb0ELi1ELi1ELi1ENS8_IJLi1ELi32ELi1ELi8EEEELi2ELNS_13LoopSchedulerE0ELNS_15PipelineVersionE0EfLb0EEEffNS2_IJPKfSG_EEEfS6_S6_S7_NS_16TensorDescriptorINS2_IJNS_5EmbedINS2_IJiiEEENS2_IJiNS_17integral_constantIiLi1EEEEEELb0EEENS_11PassThroughIiEESQ_NS_7UnMergeINS2_IJiNSL_IiLi8EEEEEELb0EEESQ_EEENS2_IJNS8_IJLi0EEEENS8_IJLi1EEEENS8_IJLi2EEEENS8_IJLi4EEEENS8_IJLi3EEEEEEENS2_IJNS8_IJLi1ELi2EEEES10_SZ_NS8_IJLi5ELi6EEEENS8_IJLi7EEEEEEENS8_IJLi5ELi7ELi6EEEElEES17_NS2_IJNSI_INS2_IJSO_SQ_SQ_NSR_INS2_IJiNSL_IiLi256EEEEEELb0EEENSR_INS2_IJiNSL_IiLi128EEEEEELb0EEEEEENS2_IJSW_SX_SY_S10_SZ_EEENS2_IJS12_S10_SZ_S13_NS8_IJLi7ELi8EEEEEEENS8_IJLi5ELi6ELi7ELi8EEEElEES1J_EEES1J_NS_31BlockToCTileMap_M00_N0_M01AdaptILi256ELi128ENSI_INS2_IJSO_SQ_SQ_EEENS2_IJSW_SX_SY_EEENS2_IJS12_S10_SZ_EEENS8_IJLi3ELi4EEEElEEiEELb0EEEvPKT0_PKT1_T2_PT3_T4_T5_T6_T7_T8_T9_T10_T11_
                                        ; -- End function
	.set _ZN2ck35kernel_gemm_multiple_d_xdl_cshuffleINS_34GridwiseGemmMultipleD_xdl_cshuffleIfffffNS_5TupleIJffEEEfNS_16tensor_operation12element_wise11PassThroughES6_NS5_14AddAddFastGeluELi1ELi256ELi256ELi128ELi32ELi8ELi8ELi16ELi16ELi8ELi4ENS_8SequenceIJLi4ELi64ELi1EEEENS8_IJLi1ELi0ELi2EEEESA_Li2ELi4ELi4ELb0ELi1ES9_SA_SA_Li2ELi4ELi4ELb0ELi1ELi1ELi1ENS8_IJLi1ELi32ELi1ELi8EEEELi2ELNS_13LoopSchedulerE0ELNS_15PipelineVersionE0EfLb0EEEffNS2_IJPKfSG_EEEfS6_S6_S7_NS_16TensorDescriptorINS2_IJNS_5EmbedINS2_IJiiEEENS2_IJiNS_17integral_constantIiLi1EEEEEELb0EEENS_11PassThroughIiEESQ_NS_7UnMergeINS2_IJiNSL_IiLi8EEEEEELb0EEESQ_EEENS2_IJNS8_IJLi0EEEENS8_IJLi1EEEENS8_IJLi2EEEENS8_IJLi4EEEENS8_IJLi3EEEEEEENS2_IJNS8_IJLi1ELi2EEEES10_SZ_NS8_IJLi5ELi6EEEENS8_IJLi7EEEEEEENS8_IJLi5ELi7ELi6EEEElEES17_NS2_IJNSI_INS2_IJSO_SQ_SQ_NSR_INS2_IJiNSL_IiLi256EEEEEELb0EEENSR_INS2_IJiNSL_IiLi128EEEEEELb0EEEEEENS2_IJSW_SX_SY_S10_SZ_EEENS2_IJS12_S10_SZ_S13_NS8_IJLi7ELi8EEEEEEENS8_IJLi5ELi6ELi7ELi8EEEElEES1J_EEES1J_NS_31BlockToCTileMap_M00_N0_M01AdaptILi256ELi128ENSI_INS2_IJSO_SQ_SQ_EEENS2_IJSW_SX_SY_EEENS2_IJS12_S10_SZ_EEENS8_IJLi3ELi4EEEElEEiEELb0EEEvPKT0_PKT1_T2_PT3_T4_T5_T6_T7_T8_T9_T10_T11_.num_vgpr, 138
	.set _ZN2ck35kernel_gemm_multiple_d_xdl_cshuffleINS_34GridwiseGemmMultipleD_xdl_cshuffleIfffffNS_5TupleIJffEEEfNS_16tensor_operation12element_wise11PassThroughES6_NS5_14AddAddFastGeluELi1ELi256ELi256ELi128ELi32ELi8ELi8ELi16ELi16ELi8ELi4ENS_8SequenceIJLi4ELi64ELi1EEEENS8_IJLi1ELi0ELi2EEEESA_Li2ELi4ELi4ELb0ELi1ES9_SA_SA_Li2ELi4ELi4ELb0ELi1ELi1ELi1ENS8_IJLi1ELi32ELi1ELi8EEEELi2ELNS_13LoopSchedulerE0ELNS_15PipelineVersionE0EfLb0EEEffNS2_IJPKfSG_EEEfS6_S6_S7_NS_16TensorDescriptorINS2_IJNS_5EmbedINS2_IJiiEEENS2_IJiNS_17integral_constantIiLi1EEEEEELb0EEENS_11PassThroughIiEESQ_NS_7UnMergeINS2_IJiNSL_IiLi8EEEEEELb0EEESQ_EEENS2_IJNS8_IJLi0EEEENS8_IJLi1EEEENS8_IJLi2EEEENS8_IJLi4EEEENS8_IJLi3EEEEEEENS2_IJNS8_IJLi1ELi2EEEES10_SZ_NS8_IJLi5ELi6EEEENS8_IJLi7EEEEEEENS8_IJLi5ELi7ELi6EEEElEES17_NS2_IJNSI_INS2_IJSO_SQ_SQ_NSR_INS2_IJiNSL_IiLi256EEEEEELb0EEENSR_INS2_IJiNSL_IiLi128EEEEEELb0EEEEEENS2_IJSW_SX_SY_S10_SZ_EEENS2_IJS12_S10_SZ_S13_NS8_IJLi7ELi8EEEEEEENS8_IJLi5ELi6ELi7ELi8EEEElEES1J_EEES1J_NS_31BlockToCTileMap_M00_N0_M01AdaptILi256ELi128ENSI_INS2_IJSO_SQ_SQ_EEENS2_IJSW_SX_SY_EEENS2_IJS12_S10_SZ_EEENS8_IJLi3ELi4EEEElEEiEELb0EEEvPKT0_PKT1_T2_PT3_T4_T5_T6_T7_T8_T9_T10_T11_.num_agpr, 0
	.set _ZN2ck35kernel_gemm_multiple_d_xdl_cshuffleINS_34GridwiseGemmMultipleD_xdl_cshuffleIfffffNS_5TupleIJffEEEfNS_16tensor_operation12element_wise11PassThroughES6_NS5_14AddAddFastGeluELi1ELi256ELi256ELi128ELi32ELi8ELi8ELi16ELi16ELi8ELi4ENS_8SequenceIJLi4ELi64ELi1EEEENS8_IJLi1ELi0ELi2EEEESA_Li2ELi4ELi4ELb0ELi1ES9_SA_SA_Li2ELi4ELi4ELb0ELi1ELi1ELi1ENS8_IJLi1ELi32ELi1ELi8EEEELi2ELNS_13LoopSchedulerE0ELNS_15PipelineVersionE0EfLb0EEEffNS2_IJPKfSG_EEEfS6_S6_S7_NS_16TensorDescriptorINS2_IJNS_5EmbedINS2_IJiiEEENS2_IJiNS_17integral_constantIiLi1EEEEEELb0EEENS_11PassThroughIiEESQ_NS_7UnMergeINS2_IJiNSL_IiLi8EEEEEELb0EEESQ_EEENS2_IJNS8_IJLi0EEEENS8_IJLi1EEEENS8_IJLi2EEEENS8_IJLi4EEEENS8_IJLi3EEEEEEENS2_IJNS8_IJLi1ELi2EEEES10_SZ_NS8_IJLi5ELi6EEEENS8_IJLi7EEEEEEENS8_IJLi5ELi7ELi6EEEElEES17_NS2_IJNSI_INS2_IJSO_SQ_SQ_NSR_INS2_IJiNSL_IiLi256EEEEEELb0EEENSR_INS2_IJiNSL_IiLi128EEEEEELb0EEEEEENS2_IJSW_SX_SY_S10_SZ_EEENS2_IJS12_S10_SZ_S13_NS8_IJLi7ELi8EEEEEEENS8_IJLi5ELi6ELi7ELi8EEEElEES1J_EEES1J_NS_31BlockToCTileMap_M00_N0_M01AdaptILi256ELi128ENSI_INS2_IJSO_SQ_SQ_EEENS2_IJSW_SX_SY_EEENS2_IJS12_S10_SZ_EEENS8_IJLi3ELi4EEEElEEiEELb0EEEvPKT0_PKT1_T2_PT3_T4_T5_T6_T7_T8_T9_T10_T11_.numbered_sgpr, 27
	.set _ZN2ck35kernel_gemm_multiple_d_xdl_cshuffleINS_34GridwiseGemmMultipleD_xdl_cshuffleIfffffNS_5TupleIJffEEEfNS_16tensor_operation12element_wise11PassThroughES6_NS5_14AddAddFastGeluELi1ELi256ELi256ELi128ELi32ELi8ELi8ELi16ELi16ELi8ELi4ENS_8SequenceIJLi4ELi64ELi1EEEENS8_IJLi1ELi0ELi2EEEESA_Li2ELi4ELi4ELb0ELi1ES9_SA_SA_Li2ELi4ELi4ELb0ELi1ELi1ELi1ENS8_IJLi1ELi32ELi1ELi8EEEELi2ELNS_13LoopSchedulerE0ELNS_15PipelineVersionE0EfLb0EEEffNS2_IJPKfSG_EEEfS6_S6_S7_NS_16TensorDescriptorINS2_IJNS_5EmbedINS2_IJiiEEENS2_IJiNS_17integral_constantIiLi1EEEEEELb0EEENS_11PassThroughIiEESQ_NS_7UnMergeINS2_IJiNSL_IiLi8EEEEEELb0EEESQ_EEENS2_IJNS8_IJLi0EEEENS8_IJLi1EEEENS8_IJLi2EEEENS8_IJLi4EEEENS8_IJLi3EEEEEEENS2_IJNS8_IJLi1ELi2EEEES10_SZ_NS8_IJLi5ELi6EEEENS8_IJLi7EEEEEEENS8_IJLi5ELi7ELi6EEEElEES17_NS2_IJNSI_INS2_IJSO_SQ_SQ_NSR_INS2_IJiNSL_IiLi256EEEEEELb0EEENSR_INS2_IJiNSL_IiLi128EEEEEELb0EEEEEENS2_IJSW_SX_SY_S10_SZ_EEENS2_IJS12_S10_SZ_S13_NS8_IJLi7ELi8EEEEEEENS8_IJLi5ELi6ELi7ELi8EEEElEES1J_EEES1J_NS_31BlockToCTileMap_M00_N0_M01AdaptILi256ELi128ENSI_INS2_IJSO_SQ_SQ_EEENS2_IJSW_SX_SY_EEENS2_IJS12_S10_SZ_EEENS8_IJLi3ELi4EEEElEEiEELb0EEEvPKT0_PKT1_T2_PT3_T4_T5_T6_T7_T8_T9_T10_T11_.num_named_barrier, 0
	.set _ZN2ck35kernel_gemm_multiple_d_xdl_cshuffleINS_34GridwiseGemmMultipleD_xdl_cshuffleIfffffNS_5TupleIJffEEEfNS_16tensor_operation12element_wise11PassThroughES6_NS5_14AddAddFastGeluELi1ELi256ELi256ELi128ELi32ELi8ELi8ELi16ELi16ELi8ELi4ENS_8SequenceIJLi4ELi64ELi1EEEENS8_IJLi1ELi0ELi2EEEESA_Li2ELi4ELi4ELb0ELi1ES9_SA_SA_Li2ELi4ELi4ELb0ELi1ELi1ELi1ENS8_IJLi1ELi32ELi1ELi8EEEELi2ELNS_13LoopSchedulerE0ELNS_15PipelineVersionE0EfLb0EEEffNS2_IJPKfSG_EEEfS6_S6_S7_NS_16TensorDescriptorINS2_IJNS_5EmbedINS2_IJiiEEENS2_IJiNS_17integral_constantIiLi1EEEEEELb0EEENS_11PassThroughIiEESQ_NS_7UnMergeINS2_IJiNSL_IiLi8EEEEEELb0EEESQ_EEENS2_IJNS8_IJLi0EEEENS8_IJLi1EEEENS8_IJLi2EEEENS8_IJLi4EEEENS8_IJLi3EEEEEEENS2_IJNS8_IJLi1ELi2EEEES10_SZ_NS8_IJLi5ELi6EEEENS8_IJLi7EEEEEEENS8_IJLi5ELi7ELi6EEEElEES17_NS2_IJNSI_INS2_IJSO_SQ_SQ_NSR_INS2_IJiNSL_IiLi256EEEEEELb0EEENSR_INS2_IJiNSL_IiLi128EEEEEELb0EEEEEENS2_IJSW_SX_SY_S10_SZ_EEENS2_IJS12_S10_SZ_S13_NS8_IJLi7ELi8EEEEEEENS8_IJLi5ELi6ELi7ELi8EEEElEES1J_EEES1J_NS_31BlockToCTileMap_M00_N0_M01AdaptILi256ELi128ENSI_INS2_IJSO_SQ_SQ_EEENS2_IJSW_SX_SY_EEENS2_IJS12_S10_SZ_EEENS8_IJLi3ELi4EEEElEEiEELb0EEEvPKT0_PKT1_T2_PT3_T4_T5_T6_T7_T8_T9_T10_T11_.private_seg_size, 0
	.set _ZN2ck35kernel_gemm_multiple_d_xdl_cshuffleINS_34GridwiseGemmMultipleD_xdl_cshuffleIfffffNS_5TupleIJffEEEfNS_16tensor_operation12element_wise11PassThroughES6_NS5_14AddAddFastGeluELi1ELi256ELi256ELi128ELi32ELi8ELi8ELi16ELi16ELi8ELi4ENS_8SequenceIJLi4ELi64ELi1EEEENS8_IJLi1ELi0ELi2EEEESA_Li2ELi4ELi4ELb0ELi1ES9_SA_SA_Li2ELi4ELi4ELb0ELi1ELi1ELi1ENS8_IJLi1ELi32ELi1ELi8EEEELi2ELNS_13LoopSchedulerE0ELNS_15PipelineVersionE0EfLb0EEEffNS2_IJPKfSG_EEEfS6_S6_S7_NS_16TensorDescriptorINS2_IJNS_5EmbedINS2_IJiiEEENS2_IJiNS_17integral_constantIiLi1EEEEEELb0EEENS_11PassThroughIiEESQ_NS_7UnMergeINS2_IJiNSL_IiLi8EEEEEELb0EEESQ_EEENS2_IJNS8_IJLi0EEEENS8_IJLi1EEEENS8_IJLi2EEEENS8_IJLi4EEEENS8_IJLi3EEEEEEENS2_IJNS8_IJLi1ELi2EEEES10_SZ_NS8_IJLi5ELi6EEEENS8_IJLi7EEEEEEENS8_IJLi5ELi7ELi6EEEElEES17_NS2_IJNSI_INS2_IJSO_SQ_SQ_NSR_INS2_IJiNSL_IiLi256EEEEEELb0EEENSR_INS2_IJiNSL_IiLi128EEEEEELb0EEEEEENS2_IJSW_SX_SY_S10_SZ_EEENS2_IJS12_S10_SZ_S13_NS8_IJLi7ELi8EEEEEEENS8_IJLi5ELi6ELi7ELi8EEEElEES1J_EEES1J_NS_31BlockToCTileMap_M00_N0_M01AdaptILi256ELi128ENSI_INS2_IJSO_SQ_SQ_EEENS2_IJSW_SX_SY_EEENS2_IJS12_S10_SZ_EEENS8_IJLi3ELi4EEEElEEiEELb0EEEvPKT0_PKT1_T2_PT3_T4_T5_T6_T7_T8_T9_T10_T11_.uses_vcc, 1
	.set _ZN2ck35kernel_gemm_multiple_d_xdl_cshuffleINS_34GridwiseGemmMultipleD_xdl_cshuffleIfffffNS_5TupleIJffEEEfNS_16tensor_operation12element_wise11PassThroughES6_NS5_14AddAddFastGeluELi1ELi256ELi256ELi128ELi32ELi8ELi8ELi16ELi16ELi8ELi4ENS_8SequenceIJLi4ELi64ELi1EEEENS8_IJLi1ELi0ELi2EEEESA_Li2ELi4ELi4ELb0ELi1ES9_SA_SA_Li2ELi4ELi4ELb0ELi1ELi1ELi1ENS8_IJLi1ELi32ELi1ELi8EEEELi2ELNS_13LoopSchedulerE0ELNS_15PipelineVersionE0EfLb0EEEffNS2_IJPKfSG_EEEfS6_S6_S7_NS_16TensorDescriptorINS2_IJNS_5EmbedINS2_IJiiEEENS2_IJiNS_17integral_constantIiLi1EEEEEELb0EEENS_11PassThroughIiEESQ_NS_7UnMergeINS2_IJiNSL_IiLi8EEEEEELb0EEESQ_EEENS2_IJNS8_IJLi0EEEENS8_IJLi1EEEENS8_IJLi2EEEENS8_IJLi4EEEENS8_IJLi3EEEEEEENS2_IJNS8_IJLi1ELi2EEEES10_SZ_NS8_IJLi5ELi6EEEENS8_IJLi7EEEEEEENS8_IJLi5ELi7ELi6EEEElEES17_NS2_IJNSI_INS2_IJSO_SQ_SQ_NSR_INS2_IJiNSL_IiLi256EEEEEELb0EEENSR_INS2_IJiNSL_IiLi128EEEEEELb0EEEEEENS2_IJSW_SX_SY_S10_SZ_EEENS2_IJS12_S10_SZ_S13_NS8_IJLi7ELi8EEEEEEENS8_IJLi5ELi6ELi7ELi8EEEElEES1J_EEES1J_NS_31BlockToCTileMap_M00_N0_M01AdaptILi256ELi128ENSI_INS2_IJSO_SQ_SQ_EEENS2_IJSW_SX_SY_EEENS2_IJS12_S10_SZ_EEENS8_IJLi3ELi4EEEElEEiEELb0EEEvPKT0_PKT1_T2_PT3_T4_T5_T6_T7_T8_T9_T10_T11_.uses_flat_scratch, 0
	.set _ZN2ck35kernel_gemm_multiple_d_xdl_cshuffleINS_34GridwiseGemmMultipleD_xdl_cshuffleIfffffNS_5TupleIJffEEEfNS_16tensor_operation12element_wise11PassThroughES6_NS5_14AddAddFastGeluELi1ELi256ELi256ELi128ELi32ELi8ELi8ELi16ELi16ELi8ELi4ENS_8SequenceIJLi4ELi64ELi1EEEENS8_IJLi1ELi0ELi2EEEESA_Li2ELi4ELi4ELb0ELi1ES9_SA_SA_Li2ELi4ELi4ELb0ELi1ELi1ELi1ENS8_IJLi1ELi32ELi1ELi8EEEELi2ELNS_13LoopSchedulerE0ELNS_15PipelineVersionE0EfLb0EEEffNS2_IJPKfSG_EEEfS6_S6_S7_NS_16TensorDescriptorINS2_IJNS_5EmbedINS2_IJiiEEENS2_IJiNS_17integral_constantIiLi1EEEEEELb0EEENS_11PassThroughIiEESQ_NS_7UnMergeINS2_IJiNSL_IiLi8EEEEEELb0EEESQ_EEENS2_IJNS8_IJLi0EEEENS8_IJLi1EEEENS8_IJLi2EEEENS8_IJLi4EEEENS8_IJLi3EEEEEEENS2_IJNS8_IJLi1ELi2EEEES10_SZ_NS8_IJLi5ELi6EEEENS8_IJLi7EEEEEEENS8_IJLi5ELi7ELi6EEEElEES17_NS2_IJNSI_INS2_IJSO_SQ_SQ_NSR_INS2_IJiNSL_IiLi256EEEEEELb0EEENSR_INS2_IJiNSL_IiLi128EEEEEELb0EEEEEENS2_IJSW_SX_SY_S10_SZ_EEENS2_IJS12_S10_SZ_S13_NS8_IJLi7ELi8EEEEEEENS8_IJLi5ELi6ELi7ELi8EEEElEES1J_EEES1J_NS_31BlockToCTileMap_M00_N0_M01AdaptILi256ELi128ENSI_INS2_IJSO_SQ_SQ_EEENS2_IJSW_SX_SY_EEENS2_IJS12_S10_SZ_EEENS8_IJLi3ELi4EEEElEEiEELb0EEEvPKT0_PKT1_T2_PT3_T4_T5_T6_T7_T8_T9_T10_T11_.has_dyn_sized_stack, 0
	.set _ZN2ck35kernel_gemm_multiple_d_xdl_cshuffleINS_34GridwiseGemmMultipleD_xdl_cshuffleIfffffNS_5TupleIJffEEEfNS_16tensor_operation12element_wise11PassThroughES6_NS5_14AddAddFastGeluELi1ELi256ELi256ELi128ELi32ELi8ELi8ELi16ELi16ELi8ELi4ENS_8SequenceIJLi4ELi64ELi1EEEENS8_IJLi1ELi0ELi2EEEESA_Li2ELi4ELi4ELb0ELi1ES9_SA_SA_Li2ELi4ELi4ELb0ELi1ELi1ELi1ENS8_IJLi1ELi32ELi1ELi8EEEELi2ELNS_13LoopSchedulerE0ELNS_15PipelineVersionE0EfLb0EEEffNS2_IJPKfSG_EEEfS6_S6_S7_NS_16TensorDescriptorINS2_IJNS_5EmbedINS2_IJiiEEENS2_IJiNS_17integral_constantIiLi1EEEEEELb0EEENS_11PassThroughIiEESQ_NS_7UnMergeINS2_IJiNSL_IiLi8EEEEEELb0EEESQ_EEENS2_IJNS8_IJLi0EEEENS8_IJLi1EEEENS8_IJLi2EEEENS8_IJLi4EEEENS8_IJLi3EEEEEEENS2_IJNS8_IJLi1ELi2EEEES10_SZ_NS8_IJLi5ELi6EEEENS8_IJLi7EEEEEEENS8_IJLi5ELi7ELi6EEEElEES17_NS2_IJNSI_INS2_IJSO_SQ_SQ_NSR_INS2_IJiNSL_IiLi256EEEEEELb0EEENSR_INS2_IJiNSL_IiLi128EEEEEELb0EEEEEENS2_IJSW_SX_SY_S10_SZ_EEENS2_IJS12_S10_SZ_S13_NS8_IJLi7ELi8EEEEEEENS8_IJLi5ELi6ELi7ELi8EEEElEES1J_EEES1J_NS_31BlockToCTileMap_M00_N0_M01AdaptILi256ELi128ENSI_INS2_IJSO_SQ_SQ_EEENS2_IJSW_SX_SY_EEENS2_IJS12_S10_SZ_EEENS8_IJLi3ELi4EEEElEEiEELb0EEEvPKT0_PKT1_T2_PT3_T4_T5_T6_T7_T8_T9_T10_T11_.has_recursion, 0
	.set _ZN2ck35kernel_gemm_multiple_d_xdl_cshuffleINS_34GridwiseGemmMultipleD_xdl_cshuffleIfffffNS_5TupleIJffEEEfNS_16tensor_operation12element_wise11PassThroughES6_NS5_14AddAddFastGeluELi1ELi256ELi256ELi128ELi32ELi8ELi8ELi16ELi16ELi8ELi4ENS_8SequenceIJLi4ELi64ELi1EEEENS8_IJLi1ELi0ELi2EEEESA_Li2ELi4ELi4ELb0ELi1ES9_SA_SA_Li2ELi4ELi4ELb0ELi1ELi1ELi1ENS8_IJLi1ELi32ELi1ELi8EEEELi2ELNS_13LoopSchedulerE0ELNS_15PipelineVersionE0EfLb0EEEffNS2_IJPKfSG_EEEfS6_S6_S7_NS_16TensorDescriptorINS2_IJNS_5EmbedINS2_IJiiEEENS2_IJiNS_17integral_constantIiLi1EEEEEELb0EEENS_11PassThroughIiEESQ_NS_7UnMergeINS2_IJiNSL_IiLi8EEEEEELb0EEESQ_EEENS2_IJNS8_IJLi0EEEENS8_IJLi1EEEENS8_IJLi2EEEENS8_IJLi4EEEENS8_IJLi3EEEEEEENS2_IJNS8_IJLi1ELi2EEEES10_SZ_NS8_IJLi5ELi6EEEENS8_IJLi7EEEEEEENS8_IJLi5ELi7ELi6EEEElEES17_NS2_IJNSI_INS2_IJSO_SQ_SQ_NSR_INS2_IJiNSL_IiLi256EEEEEELb0EEENSR_INS2_IJiNSL_IiLi128EEEEEELb0EEEEEENS2_IJSW_SX_SY_S10_SZ_EEENS2_IJS12_S10_SZ_S13_NS8_IJLi7ELi8EEEEEEENS8_IJLi5ELi6ELi7ELi8EEEElEES1J_EEES1J_NS_31BlockToCTileMap_M00_N0_M01AdaptILi256ELi128ENSI_INS2_IJSO_SQ_SQ_EEENS2_IJSW_SX_SY_EEENS2_IJS12_S10_SZ_EEENS8_IJLi3ELi4EEEElEEiEELb0EEEvPKT0_PKT1_T2_PT3_T4_T5_T6_T7_T8_T9_T10_T11_.has_indirect_call, 0
	.section	.AMDGPU.csdata,"",@progbits
; Kernel info:
; codeLenInByte = 25124
; TotalNumSgprs: 33
; NumVgprs: 138
; NumAgprs: 0
; TotalNumVgprs: 138
; ScratchSize: 0
; MemoryBound: 0
; FloatMode: 240
; IeeeMode: 1
; LDSByteSize: 49344 bytes/workgroup (compile time only)
; SGPRBlocks: 12
; VGPRBlocks: 17
; NumSGPRsForWavesPerEU: 102
; NumVGPRsForWavesPerEU: 138
; AccumOffset: 140
; Occupancy: 3
; WaveLimiterHint : 0
; COMPUTE_PGM_RSRC2:SCRATCH_EN: 0
; COMPUTE_PGM_RSRC2:USER_SGPR: 2
; COMPUTE_PGM_RSRC2:TRAP_HANDLER: 0
; COMPUTE_PGM_RSRC2:TGID_X_EN: 1
; COMPUTE_PGM_RSRC2:TGID_Y_EN: 0
; COMPUTE_PGM_RSRC2:TGID_Z_EN: 0
; COMPUTE_PGM_RSRC2:TIDIG_COMP_CNT: 0
; COMPUTE_PGM_RSRC3_GFX90A:ACCUM_OFFSET: 34
; COMPUTE_PGM_RSRC3_GFX90A:TG_SPLIT: 0
	.section	.text._ZN2ck35kernel_gemm_multiple_d_xdl_cshuffleINS_34GridwiseGemmMultipleD_xdl_cshuffleIfffffNS_5TupleIJffEEEfNS_16tensor_operation12element_wise11PassThroughES6_NS5_14AddAddFastGeluELi1ELi256ELi256ELi128ELi32ELi8ELi8ELi16ELi16ELi8ELi2ENS_8SequenceIJLi4ELi64ELi1EEEENS8_IJLi1ELi0ELi2EEEESA_Li2ELi4ELi4ELb0ELi1ES9_SA_SA_Li2ELi4ELi4ELb0ELi1ELi1ELi1ENS8_IJLi1ELi32ELi1ELi8EEEELi2ELNS_13LoopSchedulerE0ELNS_15PipelineVersionE0EfLb0EEEffNS2_IJPKfSG_EEEfS6_S6_S7_NS_16TensorDescriptorINS2_IJNS_5EmbedINS2_IJiiEEENS2_IJiNS_17integral_constantIiLi1EEEEEELb0EEENS_11PassThroughIiEESQ_NS_7UnMergeINS2_IJiNSL_IiLi8EEEEEELb0EEESQ_EEENS2_IJNS8_IJLi0EEEENS8_IJLi1EEEENS8_IJLi2EEEENS8_IJLi4EEEENS8_IJLi3EEEEEEENS2_IJNS8_IJLi1ELi2EEEES10_SZ_NS8_IJLi5ELi6EEEENS8_IJLi7EEEEEEENS8_IJLi5ELi7ELi6EEEElEES17_NS2_IJNSI_INS2_IJSO_SQ_SQ_NSR_INS2_IJiNSL_IiLi256EEEEEELb0EEENSR_INS2_IJiNSL_IiLi128EEEEEELb0EEEEEENS2_IJSW_SX_SY_S10_SZ_EEENS2_IJS12_S10_SZ_S13_NS8_IJLi7ELi8EEEEEEENS8_IJLi5ELi6ELi7ELi8EEEElEES1J_EEES1J_NS_31BlockToCTileMap_M00_N0_M01AdaptILi256ELi128ENSI_INS2_IJSO_SQ_SQ_EEENS2_IJSW_SX_SY_EEENS2_IJS12_S10_SZ_EEENS8_IJLi3ELi4EEEElEEiEELb1EEEvPKT0_PKT1_T2_PT3_T4_T5_T6_T7_T8_T9_T10_T11_,"axG",@progbits,_ZN2ck35kernel_gemm_multiple_d_xdl_cshuffleINS_34GridwiseGemmMultipleD_xdl_cshuffleIfffffNS_5TupleIJffEEEfNS_16tensor_operation12element_wise11PassThroughES6_NS5_14AddAddFastGeluELi1ELi256ELi256ELi128ELi32ELi8ELi8ELi16ELi16ELi8ELi2ENS_8SequenceIJLi4ELi64ELi1EEEENS8_IJLi1ELi0ELi2EEEESA_Li2ELi4ELi4ELb0ELi1ES9_SA_SA_Li2ELi4ELi4ELb0ELi1ELi1ELi1ENS8_IJLi1ELi32ELi1ELi8EEEELi2ELNS_13LoopSchedulerE0ELNS_15PipelineVersionE0EfLb0EEEffNS2_IJPKfSG_EEEfS6_S6_S7_NS_16TensorDescriptorINS2_IJNS_5EmbedINS2_IJiiEEENS2_IJiNS_17integral_constantIiLi1EEEEEELb0EEENS_11PassThroughIiEESQ_NS_7UnMergeINS2_IJiNSL_IiLi8EEEEEELb0EEESQ_EEENS2_IJNS8_IJLi0EEEENS8_IJLi1EEEENS8_IJLi2EEEENS8_IJLi4EEEENS8_IJLi3EEEEEEENS2_IJNS8_IJLi1ELi2EEEES10_SZ_NS8_IJLi5ELi6EEEENS8_IJLi7EEEEEEENS8_IJLi5ELi7ELi6EEEElEES17_NS2_IJNSI_INS2_IJSO_SQ_SQ_NSR_INS2_IJiNSL_IiLi256EEEEEELb0EEENSR_INS2_IJiNSL_IiLi128EEEEEELb0EEEEEENS2_IJSW_SX_SY_S10_SZ_EEENS2_IJS12_S10_SZ_S13_NS8_IJLi7ELi8EEEEEEENS8_IJLi5ELi6ELi7ELi8EEEElEES1J_EEES1J_NS_31BlockToCTileMap_M00_N0_M01AdaptILi256ELi128ENSI_INS2_IJSO_SQ_SQ_EEENS2_IJSW_SX_SY_EEENS2_IJS12_S10_SZ_EEENS8_IJLi3ELi4EEEElEEiEELb1EEEvPKT0_PKT1_T2_PT3_T4_T5_T6_T7_T8_T9_T10_T11_,comdat
	.protected	_ZN2ck35kernel_gemm_multiple_d_xdl_cshuffleINS_34GridwiseGemmMultipleD_xdl_cshuffleIfffffNS_5TupleIJffEEEfNS_16tensor_operation12element_wise11PassThroughES6_NS5_14AddAddFastGeluELi1ELi256ELi256ELi128ELi32ELi8ELi8ELi16ELi16ELi8ELi2ENS_8SequenceIJLi4ELi64ELi1EEEENS8_IJLi1ELi0ELi2EEEESA_Li2ELi4ELi4ELb0ELi1ES9_SA_SA_Li2ELi4ELi4ELb0ELi1ELi1ELi1ENS8_IJLi1ELi32ELi1ELi8EEEELi2ELNS_13LoopSchedulerE0ELNS_15PipelineVersionE0EfLb0EEEffNS2_IJPKfSG_EEEfS6_S6_S7_NS_16TensorDescriptorINS2_IJNS_5EmbedINS2_IJiiEEENS2_IJiNS_17integral_constantIiLi1EEEEEELb0EEENS_11PassThroughIiEESQ_NS_7UnMergeINS2_IJiNSL_IiLi8EEEEEELb0EEESQ_EEENS2_IJNS8_IJLi0EEEENS8_IJLi1EEEENS8_IJLi2EEEENS8_IJLi4EEEENS8_IJLi3EEEEEEENS2_IJNS8_IJLi1ELi2EEEES10_SZ_NS8_IJLi5ELi6EEEENS8_IJLi7EEEEEEENS8_IJLi5ELi7ELi6EEEElEES17_NS2_IJNSI_INS2_IJSO_SQ_SQ_NSR_INS2_IJiNSL_IiLi256EEEEEELb0EEENSR_INS2_IJiNSL_IiLi128EEEEEELb0EEEEEENS2_IJSW_SX_SY_S10_SZ_EEENS2_IJS12_S10_SZ_S13_NS8_IJLi7ELi8EEEEEEENS8_IJLi5ELi6ELi7ELi8EEEElEES1J_EEES1J_NS_31BlockToCTileMap_M00_N0_M01AdaptILi256ELi128ENSI_INS2_IJSO_SQ_SQ_EEENS2_IJSW_SX_SY_EEENS2_IJS12_S10_SZ_EEENS8_IJLi3ELi4EEEElEEiEELb1EEEvPKT0_PKT1_T2_PT3_T4_T5_T6_T7_T8_T9_T10_T11_ ; -- Begin function _ZN2ck35kernel_gemm_multiple_d_xdl_cshuffleINS_34GridwiseGemmMultipleD_xdl_cshuffleIfffffNS_5TupleIJffEEEfNS_16tensor_operation12element_wise11PassThroughES6_NS5_14AddAddFastGeluELi1ELi256ELi256ELi128ELi32ELi8ELi8ELi16ELi16ELi8ELi2ENS_8SequenceIJLi4ELi64ELi1EEEENS8_IJLi1ELi0ELi2EEEESA_Li2ELi4ELi4ELb0ELi1ES9_SA_SA_Li2ELi4ELi4ELb0ELi1ELi1ELi1ENS8_IJLi1ELi32ELi1ELi8EEEELi2ELNS_13LoopSchedulerE0ELNS_15PipelineVersionE0EfLb0EEEffNS2_IJPKfSG_EEEfS6_S6_S7_NS_16TensorDescriptorINS2_IJNS_5EmbedINS2_IJiiEEENS2_IJiNS_17integral_constantIiLi1EEEEEELb0EEENS_11PassThroughIiEESQ_NS_7UnMergeINS2_IJiNSL_IiLi8EEEEEELb0EEESQ_EEENS2_IJNS8_IJLi0EEEENS8_IJLi1EEEENS8_IJLi2EEEENS8_IJLi4EEEENS8_IJLi3EEEEEEENS2_IJNS8_IJLi1ELi2EEEES10_SZ_NS8_IJLi5ELi6EEEENS8_IJLi7EEEEEEENS8_IJLi5ELi7ELi6EEEElEES17_NS2_IJNSI_INS2_IJSO_SQ_SQ_NSR_INS2_IJiNSL_IiLi256EEEEEELb0EEENSR_INS2_IJiNSL_IiLi128EEEEEELb0EEEEEENS2_IJSW_SX_SY_S10_SZ_EEENS2_IJS12_S10_SZ_S13_NS8_IJLi7ELi8EEEEEEENS8_IJLi5ELi6ELi7ELi8EEEElEES1J_EEES1J_NS_31BlockToCTileMap_M00_N0_M01AdaptILi256ELi128ENSI_INS2_IJSO_SQ_SQ_EEENS2_IJSW_SX_SY_EEENS2_IJS12_S10_SZ_EEENS8_IJLi3ELi4EEEElEEiEELb1EEEvPKT0_PKT1_T2_PT3_T4_T5_T6_T7_T8_T9_T10_T11_
	.globl	_ZN2ck35kernel_gemm_multiple_d_xdl_cshuffleINS_34GridwiseGemmMultipleD_xdl_cshuffleIfffffNS_5TupleIJffEEEfNS_16tensor_operation12element_wise11PassThroughES6_NS5_14AddAddFastGeluELi1ELi256ELi256ELi128ELi32ELi8ELi8ELi16ELi16ELi8ELi2ENS_8SequenceIJLi4ELi64ELi1EEEENS8_IJLi1ELi0ELi2EEEESA_Li2ELi4ELi4ELb0ELi1ES9_SA_SA_Li2ELi4ELi4ELb0ELi1ELi1ELi1ENS8_IJLi1ELi32ELi1ELi8EEEELi2ELNS_13LoopSchedulerE0ELNS_15PipelineVersionE0EfLb0EEEffNS2_IJPKfSG_EEEfS6_S6_S7_NS_16TensorDescriptorINS2_IJNS_5EmbedINS2_IJiiEEENS2_IJiNS_17integral_constantIiLi1EEEEEELb0EEENS_11PassThroughIiEESQ_NS_7UnMergeINS2_IJiNSL_IiLi8EEEEEELb0EEESQ_EEENS2_IJNS8_IJLi0EEEENS8_IJLi1EEEENS8_IJLi2EEEENS8_IJLi4EEEENS8_IJLi3EEEEEEENS2_IJNS8_IJLi1ELi2EEEES10_SZ_NS8_IJLi5ELi6EEEENS8_IJLi7EEEEEEENS8_IJLi5ELi7ELi6EEEElEES17_NS2_IJNSI_INS2_IJSO_SQ_SQ_NSR_INS2_IJiNSL_IiLi256EEEEEELb0EEENSR_INS2_IJiNSL_IiLi128EEEEEELb0EEEEEENS2_IJSW_SX_SY_S10_SZ_EEENS2_IJS12_S10_SZ_S13_NS8_IJLi7ELi8EEEEEEENS8_IJLi5ELi6ELi7ELi8EEEElEES1J_EEES1J_NS_31BlockToCTileMap_M00_N0_M01AdaptILi256ELi128ENSI_INS2_IJSO_SQ_SQ_EEENS2_IJSW_SX_SY_EEENS2_IJS12_S10_SZ_EEENS8_IJLi3ELi4EEEElEEiEELb1EEEvPKT0_PKT1_T2_PT3_T4_T5_T6_T7_T8_T9_T10_T11_
	.p2align	8
	.type	_ZN2ck35kernel_gemm_multiple_d_xdl_cshuffleINS_34GridwiseGemmMultipleD_xdl_cshuffleIfffffNS_5TupleIJffEEEfNS_16tensor_operation12element_wise11PassThroughES6_NS5_14AddAddFastGeluELi1ELi256ELi256ELi128ELi32ELi8ELi8ELi16ELi16ELi8ELi2ENS_8SequenceIJLi4ELi64ELi1EEEENS8_IJLi1ELi0ELi2EEEESA_Li2ELi4ELi4ELb0ELi1ES9_SA_SA_Li2ELi4ELi4ELb0ELi1ELi1ELi1ENS8_IJLi1ELi32ELi1ELi8EEEELi2ELNS_13LoopSchedulerE0ELNS_15PipelineVersionE0EfLb0EEEffNS2_IJPKfSG_EEEfS6_S6_S7_NS_16TensorDescriptorINS2_IJNS_5EmbedINS2_IJiiEEENS2_IJiNS_17integral_constantIiLi1EEEEEELb0EEENS_11PassThroughIiEESQ_NS_7UnMergeINS2_IJiNSL_IiLi8EEEEEELb0EEESQ_EEENS2_IJNS8_IJLi0EEEENS8_IJLi1EEEENS8_IJLi2EEEENS8_IJLi4EEEENS8_IJLi3EEEEEEENS2_IJNS8_IJLi1ELi2EEEES10_SZ_NS8_IJLi5ELi6EEEENS8_IJLi7EEEEEEENS8_IJLi5ELi7ELi6EEEElEES17_NS2_IJNSI_INS2_IJSO_SQ_SQ_NSR_INS2_IJiNSL_IiLi256EEEEEELb0EEENSR_INS2_IJiNSL_IiLi128EEEEEELb0EEEEEENS2_IJSW_SX_SY_S10_SZ_EEENS2_IJS12_S10_SZ_S13_NS8_IJLi7ELi8EEEEEEENS8_IJLi5ELi6ELi7ELi8EEEElEES1J_EEES1J_NS_31BlockToCTileMap_M00_N0_M01AdaptILi256ELi128ENSI_INS2_IJSO_SQ_SQ_EEENS2_IJSW_SX_SY_EEENS2_IJS12_S10_SZ_EEENS8_IJLi3ELi4EEEElEEiEELb1EEEvPKT0_PKT1_T2_PT3_T4_T5_T6_T7_T8_T9_T10_T11_,@function
_ZN2ck35kernel_gemm_multiple_d_xdl_cshuffleINS_34GridwiseGemmMultipleD_xdl_cshuffleIfffffNS_5TupleIJffEEEfNS_16tensor_operation12element_wise11PassThroughES6_NS5_14AddAddFastGeluELi1ELi256ELi256ELi128ELi32ELi8ELi8ELi16ELi16ELi8ELi2ENS_8SequenceIJLi4ELi64ELi1EEEENS8_IJLi1ELi0ELi2EEEESA_Li2ELi4ELi4ELb0ELi1ES9_SA_SA_Li2ELi4ELi4ELb0ELi1ELi1ELi1ENS8_IJLi1ELi32ELi1ELi8EEEELi2ELNS_13LoopSchedulerE0ELNS_15PipelineVersionE0EfLb0EEEffNS2_IJPKfSG_EEEfS6_S6_S7_NS_16TensorDescriptorINS2_IJNS_5EmbedINS2_IJiiEEENS2_IJiNS_17integral_constantIiLi1EEEEEELb0EEENS_11PassThroughIiEESQ_NS_7UnMergeINS2_IJiNSL_IiLi8EEEEEELb0EEESQ_EEENS2_IJNS8_IJLi0EEEENS8_IJLi1EEEENS8_IJLi2EEEENS8_IJLi4EEEENS8_IJLi3EEEEEEENS2_IJNS8_IJLi1ELi2EEEES10_SZ_NS8_IJLi5ELi6EEEENS8_IJLi7EEEEEEENS8_IJLi5ELi7ELi6EEEElEES17_NS2_IJNSI_INS2_IJSO_SQ_SQ_NSR_INS2_IJiNSL_IiLi256EEEEEELb0EEENSR_INS2_IJiNSL_IiLi128EEEEEELb0EEEEEENS2_IJSW_SX_SY_S10_SZ_EEENS2_IJS12_S10_SZ_S13_NS8_IJLi7ELi8EEEEEEENS8_IJLi5ELi6ELi7ELi8EEEElEES1J_EEES1J_NS_31BlockToCTileMap_M00_N0_M01AdaptILi256ELi128ENSI_INS2_IJSO_SQ_SQ_EEENS2_IJSW_SX_SY_EEENS2_IJS12_S10_SZ_EEENS8_IJLi3ELi4EEEElEEiEELb1EEEvPKT0_PKT1_T2_PT3_T4_T5_T6_T7_T8_T9_T10_T11_: ; @_ZN2ck35kernel_gemm_multiple_d_xdl_cshuffleINS_34GridwiseGemmMultipleD_xdl_cshuffleIfffffNS_5TupleIJffEEEfNS_16tensor_operation12element_wise11PassThroughES6_NS5_14AddAddFastGeluELi1ELi256ELi256ELi128ELi32ELi8ELi8ELi16ELi16ELi8ELi2ENS_8SequenceIJLi4ELi64ELi1EEEENS8_IJLi1ELi0ELi2EEEESA_Li2ELi4ELi4ELb0ELi1ES9_SA_SA_Li2ELi4ELi4ELb0ELi1ELi1ELi1ENS8_IJLi1ELi32ELi1ELi8EEEELi2ELNS_13LoopSchedulerE0ELNS_15PipelineVersionE0EfLb0EEEffNS2_IJPKfSG_EEEfS6_S6_S7_NS_16TensorDescriptorINS2_IJNS_5EmbedINS2_IJiiEEENS2_IJiNS_17integral_constantIiLi1EEEEEELb0EEENS_11PassThroughIiEESQ_NS_7UnMergeINS2_IJiNSL_IiLi8EEEEEELb0EEESQ_EEENS2_IJNS8_IJLi0EEEENS8_IJLi1EEEENS8_IJLi2EEEENS8_IJLi4EEEENS8_IJLi3EEEEEEENS2_IJNS8_IJLi1ELi2EEEES10_SZ_NS8_IJLi5ELi6EEEENS8_IJLi7EEEEEEENS8_IJLi5ELi7ELi6EEEElEES17_NS2_IJNSI_INS2_IJSO_SQ_SQ_NSR_INS2_IJiNSL_IiLi256EEEEEELb0EEENSR_INS2_IJiNSL_IiLi128EEEEEELb0EEEEEENS2_IJSW_SX_SY_S10_SZ_EEENS2_IJS12_S10_SZ_S13_NS8_IJLi7ELi8EEEEEEENS8_IJLi5ELi6ELi7ELi8EEEElEES1J_EEES1J_NS_31BlockToCTileMap_M00_N0_M01AdaptILi256ELi128ENSI_INS2_IJSO_SQ_SQ_EEENS2_IJSW_SX_SY_EEENS2_IJS12_S10_SZ_EEENS8_IJLi3ELi4EEEElEEiEELb1EEEvPKT0_PKT1_T2_PT3_T4_T5_T6_T7_T8_T9_T10_T11_
; %bb.0:
	s_endpgm
	.section	.rodata,"a",@progbits
	.p2align	6, 0x0
	.amdhsa_kernel _ZN2ck35kernel_gemm_multiple_d_xdl_cshuffleINS_34GridwiseGemmMultipleD_xdl_cshuffleIfffffNS_5TupleIJffEEEfNS_16tensor_operation12element_wise11PassThroughES6_NS5_14AddAddFastGeluELi1ELi256ELi256ELi128ELi32ELi8ELi8ELi16ELi16ELi8ELi2ENS_8SequenceIJLi4ELi64ELi1EEEENS8_IJLi1ELi0ELi2EEEESA_Li2ELi4ELi4ELb0ELi1ES9_SA_SA_Li2ELi4ELi4ELb0ELi1ELi1ELi1ENS8_IJLi1ELi32ELi1ELi8EEEELi2ELNS_13LoopSchedulerE0ELNS_15PipelineVersionE0EfLb0EEEffNS2_IJPKfSG_EEEfS6_S6_S7_NS_16TensorDescriptorINS2_IJNS_5EmbedINS2_IJiiEEENS2_IJiNS_17integral_constantIiLi1EEEEEELb0EEENS_11PassThroughIiEESQ_NS_7UnMergeINS2_IJiNSL_IiLi8EEEEEELb0EEESQ_EEENS2_IJNS8_IJLi0EEEENS8_IJLi1EEEENS8_IJLi2EEEENS8_IJLi4EEEENS8_IJLi3EEEEEEENS2_IJNS8_IJLi1ELi2EEEES10_SZ_NS8_IJLi5ELi6EEEENS8_IJLi7EEEEEEENS8_IJLi5ELi7ELi6EEEElEES17_NS2_IJNSI_INS2_IJSO_SQ_SQ_NSR_INS2_IJiNSL_IiLi256EEEEEELb0EEENSR_INS2_IJiNSL_IiLi128EEEEEELb0EEEEEENS2_IJSW_SX_SY_S10_SZ_EEENS2_IJS12_S10_SZ_S13_NS8_IJLi7ELi8EEEEEEENS8_IJLi5ELi6ELi7ELi8EEEElEES1J_EEES1J_NS_31BlockToCTileMap_M00_N0_M01AdaptILi256ELi128ENSI_INS2_IJSO_SQ_SQ_EEENS2_IJSW_SX_SY_EEENS2_IJS12_S10_SZ_EEENS8_IJLi3ELi4EEEElEEiEELb1EEEvPKT0_PKT1_T2_PT3_T4_T5_T6_T7_T8_T9_T10_T11_
		.amdhsa_group_segment_fixed_size 0
		.amdhsa_private_segment_fixed_size 0
		.amdhsa_kernarg_size 364
		.amdhsa_user_sgpr_count 2
		.amdhsa_user_sgpr_dispatch_ptr 0
		.amdhsa_user_sgpr_queue_ptr 0
		.amdhsa_user_sgpr_kernarg_segment_ptr 1
		.amdhsa_user_sgpr_dispatch_id 0
		.amdhsa_user_sgpr_kernarg_preload_length 0
		.amdhsa_user_sgpr_kernarg_preload_offset 0
		.amdhsa_user_sgpr_private_segment_size 0
		.amdhsa_uses_dynamic_stack 0
		.amdhsa_enable_private_segment 0
		.amdhsa_system_sgpr_workgroup_id_x 1
		.amdhsa_system_sgpr_workgroup_id_y 0
		.amdhsa_system_sgpr_workgroup_id_z 0
		.amdhsa_system_sgpr_workgroup_info 0
		.amdhsa_system_vgpr_workitem_id 0
		.amdhsa_next_free_vgpr 1
		.amdhsa_next_free_sgpr 0
		.amdhsa_accum_offset 4
		.amdhsa_reserve_vcc 0
		.amdhsa_float_round_mode_32 0
		.amdhsa_float_round_mode_16_64 0
		.amdhsa_float_denorm_mode_32 3
		.amdhsa_float_denorm_mode_16_64 3
		.amdhsa_dx10_clamp 1
		.amdhsa_ieee_mode 1
		.amdhsa_fp16_overflow 0
		.amdhsa_tg_split 0
		.amdhsa_exception_fp_ieee_invalid_op 0
		.amdhsa_exception_fp_denorm_src 0
		.amdhsa_exception_fp_ieee_div_zero 0
		.amdhsa_exception_fp_ieee_overflow 0
		.amdhsa_exception_fp_ieee_underflow 0
		.amdhsa_exception_fp_ieee_inexact 0
		.amdhsa_exception_int_div_zero 0
	.end_amdhsa_kernel
	.section	.text._ZN2ck35kernel_gemm_multiple_d_xdl_cshuffleINS_34GridwiseGemmMultipleD_xdl_cshuffleIfffffNS_5TupleIJffEEEfNS_16tensor_operation12element_wise11PassThroughES6_NS5_14AddAddFastGeluELi1ELi256ELi256ELi128ELi32ELi8ELi8ELi16ELi16ELi8ELi2ENS_8SequenceIJLi4ELi64ELi1EEEENS8_IJLi1ELi0ELi2EEEESA_Li2ELi4ELi4ELb0ELi1ES9_SA_SA_Li2ELi4ELi4ELb0ELi1ELi1ELi1ENS8_IJLi1ELi32ELi1ELi8EEEELi2ELNS_13LoopSchedulerE0ELNS_15PipelineVersionE0EfLb0EEEffNS2_IJPKfSG_EEEfS6_S6_S7_NS_16TensorDescriptorINS2_IJNS_5EmbedINS2_IJiiEEENS2_IJiNS_17integral_constantIiLi1EEEEEELb0EEENS_11PassThroughIiEESQ_NS_7UnMergeINS2_IJiNSL_IiLi8EEEEEELb0EEESQ_EEENS2_IJNS8_IJLi0EEEENS8_IJLi1EEEENS8_IJLi2EEEENS8_IJLi4EEEENS8_IJLi3EEEEEEENS2_IJNS8_IJLi1ELi2EEEES10_SZ_NS8_IJLi5ELi6EEEENS8_IJLi7EEEEEEENS8_IJLi5ELi7ELi6EEEElEES17_NS2_IJNSI_INS2_IJSO_SQ_SQ_NSR_INS2_IJiNSL_IiLi256EEEEEELb0EEENSR_INS2_IJiNSL_IiLi128EEEEEELb0EEEEEENS2_IJSW_SX_SY_S10_SZ_EEENS2_IJS12_S10_SZ_S13_NS8_IJLi7ELi8EEEEEEENS8_IJLi5ELi6ELi7ELi8EEEElEES1J_EEES1J_NS_31BlockToCTileMap_M00_N0_M01AdaptILi256ELi128ENSI_INS2_IJSO_SQ_SQ_EEENS2_IJSW_SX_SY_EEENS2_IJS12_S10_SZ_EEENS8_IJLi3ELi4EEEElEEiEELb1EEEvPKT0_PKT1_T2_PT3_T4_T5_T6_T7_T8_T9_T10_T11_,"axG",@progbits,_ZN2ck35kernel_gemm_multiple_d_xdl_cshuffleINS_34GridwiseGemmMultipleD_xdl_cshuffleIfffffNS_5TupleIJffEEEfNS_16tensor_operation12element_wise11PassThroughES6_NS5_14AddAddFastGeluELi1ELi256ELi256ELi128ELi32ELi8ELi8ELi16ELi16ELi8ELi2ENS_8SequenceIJLi4ELi64ELi1EEEENS8_IJLi1ELi0ELi2EEEESA_Li2ELi4ELi4ELb0ELi1ES9_SA_SA_Li2ELi4ELi4ELb0ELi1ELi1ELi1ENS8_IJLi1ELi32ELi1ELi8EEEELi2ELNS_13LoopSchedulerE0ELNS_15PipelineVersionE0EfLb0EEEffNS2_IJPKfSG_EEEfS6_S6_S7_NS_16TensorDescriptorINS2_IJNS_5EmbedINS2_IJiiEEENS2_IJiNS_17integral_constantIiLi1EEEEEELb0EEENS_11PassThroughIiEESQ_NS_7UnMergeINS2_IJiNSL_IiLi8EEEEEELb0EEESQ_EEENS2_IJNS8_IJLi0EEEENS8_IJLi1EEEENS8_IJLi2EEEENS8_IJLi4EEEENS8_IJLi3EEEEEEENS2_IJNS8_IJLi1ELi2EEEES10_SZ_NS8_IJLi5ELi6EEEENS8_IJLi7EEEEEEENS8_IJLi5ELi7ELi6EEEElEES17_NS2_IJNSI_INS2_IJSO_SQ_SQ_NSR_INS2_IJiNSL_IiLi256EEEEEELb0EEENSR_INS2_IJiNSL_IiLi128EEEEEELb0EEEEEENS2_IJSW_SX_SY_S10_SZ_EEENS2_IJS12_S10_SZ_S13_NS8_IJLi7ELi8EEEEEEENS8_IJLi5ELi6ELi7ELi8EEEElEES1J_EEES1J_NS_31BlockToCTileMap_M00_N0_M01AdaptILi256ELi128ENSI_INS2_IJSO_SQ_SQ_EEENS2_IJSW_SX_SY_EEENS2_IJS12_S10_SZ_EEENS8_IJLi3ELi4EEEElEEiEELb1EEEvPKT0_PKT1_T2_PT3_T4_T5_T6_T7_T8_T9_T10_T11_,comdat
.Lfunc_end3:
	.size	_ZN2ck35kernel_gemm_multiple_d_xdl_cshuffleINS_34GridwiseGemmMultipleD_xdl_cshuffleIfffffNS_5TupleIJffEEEfNS_16tensor_operation12element_wise11PassThroughES6_NS5_14AddAddFastGeluELi1ELi256ELi256ELi128ELi32ELi8ELi8ELi16ELi16ELi8ELi2ENS_8SequenceIJLi4ELi64ELi1EEEENS8_IJLi1ELi0ELi2EEEESA_Li2ELi4ELi4ELb0ELi1ES9_SA_SA_Li2ELi4ELi4ELb0ELi1ELi1ELi1ENS8_IJLi1ELi32ELi1ELi8EEEELi2ELNS_13LoopSchedulerE0ELNS_15PipelineVersionE0EfLb0EEEffNS2_IJPKfSG_EEEfS6_S6_S7_NS_16TensorDescriptorINS2_IJNS_5EmbedINS2_IJiiEEENS2_IJiNS_17integral_constantIiLi1EEEEEELb0EEENS_11PassThroughIiEESQ_NS_7UnMergeINS2_IJiNSL_IiLi8EEEEEELb0EEESQ_EEENS2_IJNS8_IJLi0EEEENS8_IJLi1EEEENS8_IJLi2EEEENS8_IJLi4EEEENS8_IJLi3EEEEEEENS2_IJNS8_IJLi1ELi2EEEES10_SZ_NS8_IJLi5ELi6EEEENS8_IJLi7EEEEEEENS8_IJLi5ELi7ELi6EEEElEES17_NS2_IJNSI_INS2_IJSO_SQ_SQ_NSR_INS2_IJiNSL_IiLi256EEEEEELb0EEENSR_INS2_IJiNSL_IiLi128EEEEEELb0EEEEEENS2_IJSW_SX_SY_S10_SZ_EEENS2_IJS12_S10_SZ_S13_NS8_IJLi7ELi8EEEEEEENS8_IJLi5ELi6ELi7ELi8EEEElEES1J_EEES1J_NS_31BlockToCTileMap_M00_N0_M01AdaptILi256ELi128ENSI_INS2_IJSO_SQ_SQ_EEENS2_IJSW_SX_SY_EEENS2_IJS12_S10_SZ_EEENS8_IJLi3ELi4EEEElEEiEELb1EEEvPKT0_PKT1_T2_PT3_T4_T5_T6_T7_T8_T9_T10_T11_, .Lfunc_end3-_ZN2ck35kernel_gemm_multiple_d_xdl_cshuffleINS_34GridwiseGemmMultipleD_xdl_cshuffleIfffffNS_5TupleIJffEEEfNS_16tensor_operation12element_wise11PassThroughES6_NS5_14AddAddFastGeluELi1ELi256ELi256ELi128ELi32ELi8ELi8ELi16ELi16ELi8ELi2ENS_8SequenceIJLi4ELi64ELi1EEEENS8_IJLi1ELi0ELi2EEEESA_Li2ELi4ELi4ELb0ELi1ES9_SA_SA_Li2ELi4ELi4ELb0ELi1ELi1ELi1ENS8_IJLi1ELi32ELi1ELi8EEEELi2ELNS_13LoopSchedulerE0ELNS_15PipelineVersionE0EfLb0EEEffNS2_IJPKfSG_EEEfS6_S6_S7_NS_16TensorDescriptorINS2_IJNS_5EmbedINS2_IJiiEEENS2_IJiNS_17integral_constantIiLi1EEEEEELb0EEENS_11PassThroughIiEESQ_NS_7UnMergeINS2_IJiNSL_IiLi8EEEEEELb0EEESQ_EEENS2_IJNS8_IJLi0EEEENS8_IJLi1EEEENS8_IJLi2EEEENS8_IJLi4EEEENS8_IJLi3EEEEEEENS2_IJNS8_IJLi1ELi2EEEES10_SZ_NS8_IJLi5ELi6EEEENS8_IJLi7EEEEEEENS8_IJLi5ELi7ELi6EEEElEES17_NS2_IJNSI_INS2_IJSO_SQ_SQ_NSR_INS2_IJiNSL_IiLi256EEEEEELb0EEENSR_INS2_IJiNSL_IiLi128EEEEEELb0EEEEEENS2_IJSW_SX_SY_S10_SZ_EEENS2_IJS12_S10_SZ_S13_NS8_IJLi7ELi8EEEEEEENS8_IJLi5ELi6ELi7ELi8EEEElEES1J_EEES1J_NS_31BlockToCTileMap_M00_N0_M01AdaptILi256ELi128ENSI_INS2_IJSO_SQ_SQ_EEENS2_IJSW_SX_SY_EEENS2_IJS12_S10_SZ_EEENS8_IJLi3ELi4EEEElEEiEELb1EEEvPKT0_PKT1_T2_PT3_T4_T5_T6_T7_T8_T9_T10_T11_
                                        ; -- End function
	.set _ZN2ck35kernel_gemm_multiple_d_xdl_cshuffleINS_34GridwiseGemmMultipleD_xdl_cshuffleIfffffNS_5TupleIJffEEEfNS_16tensor_operation12element_wise11PassThroughES6_NS5_14AddAddFastGeluELi1ELi256ELi256ELi128ELi32ELi8ELi8ELi16ELi16ELi8ELi2ENS_8SequenceIJLi4ELi64ELi1EEEENS8_IJLi1ELi0ELi2EEEESA_Li2ELi4ELi4ELb0ELi1ES9_SA_SA_Li2ELi4ELi4ELb0ELi1ELi1ELi1ENS8_IJLi1ELi32ELi1ELi8EEEELi2ELNS_13LoopSchedulerE0ELNS_15PipelineVersionE0EfLb0EEEffNS2_IJPKfSG_EEEfS6_S6_S7_NS_16TensorDescriptorINS2_IJNS_5EmbedINS2_IJiiEEENS2_IJiNS_17integral_constantIiLi1EEEEEELb0EEENS_11PassThroughIiEESQ_NS_7UnMergeINS2_IJiNSL_IiLi8EEEEEELb0EEESQ_EEENS2_IJNS8_IJLi0EEEENS8_IJLi1EEEENS8_IJLi2EEEENS8_IJLi4EEEENS8_IJLi3EEEEEEENS2_IJNS8_IJLi1ELi2EEEES10_SZ_NS8_IJLi5ELi6EEEENS8_IJLi7EEEEEEENS8_IJLi5ELi7ELi6EEEElEES17_NS2_IJNSI_INS2_IJSO_SQ_SQ_NSR_INS2_IJiNSL_IiLi256EEEEEELb0EEENSR_INS2_IJiNSL_IiLi128EEEEEELb0EEEEEENS2_IJSW_SX_SY_S10_SZ_EEENS2_IJS12_S10_SZ_S13_NS8_IJLi7ELi8EEEEEEENS8_IJLi5ELi6ELi7ELi8EEEElEES1J_EEES1J_NS_31BlockToCTileMap_M00_N0_M01AdaptILi256ELi128ENSI_INS2_IJSO_SQ_SQ_EEENS2_IJSW_SX_SY_EEENS2_IJS12_S10_SZ_EEENS8_IJLi3ELi4EEEElEEiEELb1EEEvPKT0_PKT1_T2_PT3_T4_T5_T6_T7_T8_T9_T10_T11_.num_vgpr, 0
	.set _ZN2ck35kernel_gemm_multiple_d_xdl_cshuffleINS_34GridwiseGemmMultipleD_xdl_cshuffleIfffffNS_5TupleIJffEEEfNS_16tensor_operation12element_wise11PassThroughES6_NS5_14AddAddFastGeluELi1ELi256ELi256ELi128ELi32ELi8ELi8ELi16ELi16ELi8ELi2ENS_8SequenceIJLi4ELi64ELi1EEEENS8_IJLi1ELi0ELi2EEEESA_Li2ELi4ELi4ELb0ELi1ES9_SA_SA_Li2ELi4ELi4ELb0ELi1ELi1ELi1ENS8_IJLi1ELi32ELi1ELi8EEEELi2ELNS_13LoopSchedulerE0ELNS_15PipelineVersionE0EfLb0EEEffNS2_IJPKfSG_EEEfS6_S6_S7_NS_16TensorDescriptorINS2_IJNS_5EmbedINS2_IJiiEEENS2_IJiNS_17integral_constantIiLi1EEEEEELb0EEENS_11PassThroughIiEESQ_NS_7UnMergeINS2_IJiNSL_IiLi8EEEEEELb0EEESQ_EEENS2_IJNS8_IJLi0EEEENS8_IJLi1EEEENS8_IJLi2EEEENS8_IJLi4EEEENS8_IJLi3EEEEEEENS2_IJNS8_IJLi1ELi2EEEES10_SZ_NS8_IJLi5ELi6EEEENS8_IJLi7EEEEEEENS8_IJLi5ELi7ELi6EEEElEES17_NS2_IJNSI_INS2_IJSO_SQ_SQ_NSR_INS2_IJiNSL_IiLi256EEEEEELb0EEENSR_INS2_IJiNSL_IiLi128EEEEEELb0EEEEEENS2_IJSW_SX_SY_S10_SZ_EEENS2_IJS12_S10_SZ_S13_NS8_IJLi7ELi8EEEEEEENS8_IJLi5ELi6ELi7ELi8EEEElEES1J_EEES1J_NS_31BlockToCTileMap_M00_N0_M01AdaptILi256ELi128ENSI_INS2_IJSO_SQ_SQ_EEENS2_IJSW_SX_SY_EEENS2_IJS12_S10_SZ_EEENS8_IJLi3ELi4EEEElEEiEELb1EEEvPKT0_PKT1_T2_PT3_T4_T5_T6_T7_T8_T9_T10_T11_.num_agpr, 0
	.set _ZN2ck35kernel_gemm_multiple_d_xdl_cshuffleINS_34GridwiseGemmMultipleD_xdl_cshuffleIfffffNS_5TupleIJffEEEfNS_16tensor_operation12element_wise11PassThroughES6_NS5_14AddAddFastGeluELi1ELi256ELi256ELi128ELi32ELi8ELi8ELi16ELi16ELi8ELi2ENS_8SequenceIJLi4ELi64ELi1EEEENS8_IJLi1ELi0ELi2EEEESA_Li2ELi4ELi4ELb0ELi1ES9_SA_SA_Li2ELi4ELi4ELb0ELi1ELi1ELi1ENS8_IJLi1ELi32ELi1ELi8EEEELi2ELNS_13LoopSchedulerE0ELNS_15PipelineVersionE0EfLb0EEEffNS2_IJPKfSG_EEEfS6_S6_S7_NS_16TensorDescriptorINS2_IJNS_5EmbedINS2_IJiiEEENS2_IJiNS_17integral_constantIiLi1EEEEEELb0EEENS_11PassThroughIiEESQ_NS_7UnMergeINS2_IJiNSL_IiLi8EEEEEELb0EEESQ_EEENS2_IJNS8_IJLi0EEEENS8_IJLi1EEEENS8_IJLi2EEEENS8_IJLi4EEEENS8_IJLi3EEEEEEENS2_IJNS8_IJLi1ELi2EEEES10_SZ_NS8_IJLi5ELi6EEEENS8_IJLi7EEEEEEENS8_IJLi5ELi7ELi6EEEElEES17_NS2_IJNSI_INS2_IJSO_SQ_SQ_NSR_INS2_IJiNSL_IiLi256EEEEEELb0EEENSR_INS2_IJiNSL_IiLi128EEEEEELb0EEEEEENS2_IJSW_SX_SY_S10_SZ_EEENS2_IJS12_S10_SZ_S13_NS8_IJLi7ELi8EEEEEEENS8_IJLi5ELi6ELi7ELi8EEEElEES1J_EEES1J_NS_31BlockToCTileMap_M00_N0_M01AdaptILi256ELi128ENSI_INS2_IJSO_SQ_SQ_EEENS2_IJSW_SX_SY_EEENS2_IJS12_S10_SZ_EEENS8_IJLi3ELi4EEEElEEiEELb1EEEvPKT0_PKT1_T2_PT3_T4_T5_T6_T7_T8_T9_T10_T11_.numbered_sgpr, 0
	.set _ZN2ck35kernel_gemm_multiple_d_xdl_cshuffleINS_34GridwiseGemmMultipleD_xdl_cshuffleIfffffNS_5TupleIJffEEEfNS_16tensor_operation12element_wise11PassThroughES6_NS5_14AddAddFastGeluELi1ELi256ELi256ELi128ELi32ELi8ELi8ELi16ELi16ELi8ELi2ENS_8SequenceIJLi4ELi64ELi1EEEENS8_IJLi1ELi0ELi2EEEESA_Li2ELi4ELi4ELb0ELi1ES9_SA_SA_Li2ELi4ELi4ELb0ELi1ELi1ELi1ENS8_IJLi1ELi32ELi1ELi8EEEELi2ELNS_13LoopSchedulerE0ELNS_15PipelineVersionE0EfLb0EEEffNS2_IJPKfSG_EEEfS6_S6_S7_NS_16TensorDescriptorINS2_IJNS_5EmbedINS2_IJiiEEENS2_IJiNS_17integral_constantIiLi1EEEEEELb0EEENS_11PassThroughIiEESQ_NS_7UnMergeINS2_IJiNSL_IiLi8EEEEEELb0EEESQ_EEENS2_IJNS8_IJLi0EEEENS8_IJLi1EEEENS8_IJLi2EEEENS8_IJLi4EEEENS8_IJLi3EEEEEEENS2_IJNS8_IJLi1ELi2EEEES10_SZ_NS8_IJLi5ELi6EEEENS8_IJLi7EEEEEEENS8_IJLi5ELi7ELi6EEEElEES17_NS2_IJNSI_INS2_IJSO_SQ_SQ_NSR_INS2_IJiNSL_IiLi256EEEEEELb0EEENSR_INS2_IJiNSL_IiLi128EEEEEELb0EEEEEENS2_IJSW_SX_SY_S10_SZ_EEENS2_IJS12_S10_SZ_S13_NS8_IJLi7ELi8EEEEEEENS8_IJLi5ELi6ELi7ELi8EEEElEES1J_EEES1J_NS_31BlockToCTileMap_M00_N0_M01AdaptILi256ELi128ENSI_INS2_IJSO_SQ_SQ_EEENS2_IJSW_SX_SY_EEENS2_IJS12_S10_SZ_EEENS8_IJLi3ELi4EEEElEEiEELb1EEEvPKT0_PKT1_T2_PT3_T4_T5_T6_T7_T8_T9_T10_T11_.num_named_barrier, 0
	.set _ZN2ck35kernel_gemm_multiple_d_xdl_cshuffleINS_34GridwiseGemmMultipleD_xdl_cshuffleIfffffNS_5TupleIJffEEEfNS_16tensor_operation12element_wise11PassThroughES6_NS5_14AddAddFastGeluELi1ELi256ELi256ELi128ELi32ELi8ELi8ELi16ELi16ELi8ELi2ENS_8SequenceIJLi4ELi64ELi1EEEENS8_IJLi1ELi0ELi2EEEESA_Li2ELi4ELi4ELb0ELi1ES9_SA_SA_Li2ELi4ELi4ELb0ELi1ELi1ELi1ENS8_IJLi1ELi32ELi1ELi8EEEELi2ELNS_13LoopSchedulerE0ELNS_15PipelineVersionE0EfLb0EEEffNS2_IJPKfSG_EEEfS6_S6_S7_NS_16TensorDescriptorINS2_IJNS_5EmbedINS2_IJiiEEENS2_IJiNS_17integral_constantIiLi1EEEEEELb0EEENS_11PassThroughIiEESQ_NS_7UnMergeINS2_IJiNSL_IiLi8EEEEEELb0EEESQ_EEENS2_IJNS8_IJLi0EEEENS8_IJLi1EEEENS8_IJLi2EEEENS8_IJLi4EEEENS8_IJLi3EEEEEEENS2_IJNS8_IJLi1ELi2EEEES10_SZ_NS8_IJLi5ELi6EEEENS8_IJLi7EEEEEEENS8_IJLi5ELi7ELi6EEEElEES17_NS2_IJNSI_INS2_IJSO_SQ_SQ_NSR_INS2_IJiNSL_IiLi256EEEEEELb0EEENSR_INS2_IJiNSL_IiLi128EEEEEELb0EEEEEENS2_IJSW_SX_SY_S10_SZ_EEENS2_IJS12_S10_SZ_S13_NS8_IJLi7ELi8EEEEEEENS8_IJLi5ELi6ELi7ELi8EEEElEES1J_EEES1J_NS_31BlockToCTileMap_M00_N0_M01AdaptILi256ELi128ENSI_INS2_IJSO_SQ_SQ_EEENS2_IJSW_SX_SY_EEENS2_IJS12_S10_SZ_EEENS8_IJLi3ELi4EEEElEEiEELb1EEEvPKT0_PKT1_T2_PT3_T4_T5_T6_T7_T8_T9_T10_T11_.private_seg_size, 0
	.set _ZN2ck35kernel_gemm_multiple_d_xdl_cshuffleINS_34GridwiseGemmMultipleD_xdl_cshuffleIfffffNS_5TupleIJffEEEfNS_16tensor_operation12element_wise11PassThroughES6_NS5_14AddAddFastGeluELi1ELi256ELi256ELi128ELi32ELi8ELi8ELi16ELi16ELi8ELi2ENS_8SequenceIJLi4ELi64ELi1EEEENS8_IJLi1ELi0ELi2EEEESA_Li2ELi4ELi4ELb0ELi1ES9_SA_SA_Li2ELi4ELi4ELb0ELi1ELi1ELi1ENS8_IJLi1ELi32ELi1ELi8EEEELi2ELNS_13LoopSchedulerE0ELNS_15PipelineVersionE0EfLb0EEEffNS2_IJPKfSG_EEEfS6_S6_S7_NS_16TensorDescriptorINS2_IJNS_5EmbedINS2_IJiiEEENS2_IJiNS_17integral_constantIiLi1EEEEEELb0EEENS_11PassThroughIiEESQ_NS_7UnMergeINS2_IJiNSL_IiLi8EEEEEELb0EEESQ_EEENS2_IJNS8_IJLi0EEEENS8_IJLi1EEEENS8_IJLi2EEEENS8_IJLi4EEEENS8_IJLi3EEEEEEENS2_IJNS8_IJLi1ELi2EEEES10_SZ_NS8_IJLi5ELi6EEEENS8_IJLi7EEEEEEENS8_IJLi5ELi7ELi6EEEElEES17_NS2_IJNSI_INS2_IJSO_SQ_SQ_NSR_INS2_IJiNSL_IiLi256EEEEEELb0EEENSR_INS2_IJiNSL_IiLi128EEEEEELb0EEEEEENS2_IJSW_SX_SY_S10_SZ_EEENS2_IJS12_S10_SZ_S13_NS8_IJLi7ELi8EEEEEEENS8_IJLi5ELi6ELi7ELi8EEEElEES1J_EEES1J_NS_31BlockToCTileMap_M00_N0_M01AdaptILi256ELi128ENSI_INS2_IJSO_SQ_SQ_EEENS2_IJSW_SX_SY_EEENS2_IJS12_S10_SZ_EEENS8_IJLi3ELi4EEEElEEiEELb1EEEvPKT0_PKT1_T2_PT3_T4_T5_T6_T7_T8_T9_T10_T11_.uses_vcc, 0
	.set _ZN2ck35kernel_gemm_multiple_d_xdl_cshuffleINS_34GridwiseGemmMultipleD_xdl_cshuffleIfffffNS_5TupleIJffEEEfNS_16tensor_operation12element_wise11PassThroughES6_NS5_14AddAddFastGeluELi1ELi256ELi256ELi128ELi32ELi8ELi8ELi16ELi16ELi8ELi2ENS_8SequenceIJLi4ELi64ELi1EEEENS8_IJLi1ELi0ELi2EEEESA_Li2ELi4ELi4ELb0ELi1ES9_SA_SA_Li2ELi4ELi4ELb0ELi1ELi1ELi1ENS8_IJLi1ELi32ELi1ELi8EEEELi2ELNS_13LoopSchedulerE0ELNS_15PipelineVersionE0EfLb0EEEffNS2_IJPKfSG_EEEfS6_S6_S7_NS_16TensorDescriptorINS2_IJNS_5EmbedINS2_IJiiEEENS2_IJiNS_17integral_constantIiLi1EEEEEELb0EEENS_11PassThroughIiEESQ_NS_7UnMergeINS2_IJiNSL_IiLi8EEEEEELb0EEESQ_EEENS2_IJNS8_IJLi0EEEENS8_IJLi1EEEENS8_IJLi2EEEENS8_IJLi4EEEENS8_IJLi3EEEEEEENS2_IJNS8_IJLi1ELi2EEEES10_SZ_NS8_IJLi5ELi6EEEENS8_IJLi7EEEEEEENS8_IJLi5ELi7ELi6EEEElEES17_NS2_IJNSI_INS2_IJSO_SQ_SQ_NSR_INS2_IJiNSL_IiLi256EEEEEELb0EEENSR_INS2_IJiNSL_IiLi128EEEEEELb0EEEEEENS2_IJSW_SX_SY_S10_SZ_EEENS2_IJS12_S10_SZ_S13_NS8_IJLi7ELi8EEEEEEENS8_IJLi5ELi6ELi7ELi8EEEElEES1J_EEES1J_NS_31BlockToCTileMap_M00_N0_M01AdaptILi256ELi128ENSI_INS2_IJSO_SQ_SQ_EEENS2_IJSW_SX_SY_EEENS2_IJS12_S10_SZ_EEENS8_IJLi3ELi4EEEElEEiEELb1EEEvPKT0_PKT1_T2_PT3_T4_T5_T6_T7_T8_T9_T10_T11_.uses_flat_scratch, 0
	.set _ZN2ck35kernel_gemm_multiple_d_xdl_cshuffleINS_34GridwiseGemmMultipleD_xdl_cshuffleIfffffNS_5TupleIJffEEEfNS_16tensor_operation12element_wise11PassThroughES6_NS5_14AddAddFastGeluELi1ELi256ELi256ELi128ELi32ELi8ELi8ELi16ELi16ELi8ELi2ENS_8SequenceIJLi4ELi64ELi1EEEENS8_IJLi1ELi0ELi2EEEESA_Li2ELi4ELi4ELb0ELi1ES9_SA_SA_Li2ELi4ELi4ELb0ELi1ELi1ELi1ENS8_IJLi1ELi32ELi1ELi8EEEELi2ELNS_13LoopSchedulerE0ELNS_15PipelineVersionE0EfLb0EEEffNS2_IJPKfSG_EEEfS6_S6_S7_NS_16TensorDescriptorINS2_IJNS_5EmbedINS2_IJiiEEENS2_IJiNS_17integral_constantIiLi1EEEEEELb0EEENS_11PassThroughIiEESQ_NS_7UnMergeINS2_IJiNSL_IiLi8EEEEEELb0EEESQ_EEENS2_IJNS8_IJLi0EEEENS8_IJLi1EEEENS8_IJLi2EEEENS8_IJLi4EEEENS8_IJLi3EEEEEEENS2_IJNS8_IJLi1ELi2EEEES10_SZ_NS8_IJLi5ELi6EEEENS8_IJLi7EEEEEEENS8_IJLi5ELi7ELi6EEEElEES17_NS2_IJNSI_INS2_IJSO_SQ_SQ_NSR_INS2_IJiNSL_IiLi256EEEEEELb0EEENSR_INS2_IJiNSL_IiLi128EEEEEELb0EEEEEENS2_IJSW_SX_SY_S10_SZ_EEENS2_IJS12_S10_SZ_S13_NS8_IJLi7ELi8EEEEEEENS8_IJLi5ELi6ELi7ELi8EEEElEES1J_EEES1J_NS_31BlockToCTileMap_M00_N0_M01AdaptILi256ELi128ENSI_INS2_IJSO_SQ_SQ_EEENS2_IJSW_SX_SY_EEENS2_IJS12_S10_SZ_EEENS8_IJLi3ELi4EEEElEEiEELb1EEEvPKT0_PKT1_T2_PT3_T4_T5_T6_T7_T8_T9_T10_T11_.has_dyn_sized_stack, 0
	.set _ZN2ck35kernel_gemm_multiple_d_xdl_cshuffleINS_34GridwiseGemmMultipleD_xdl_cshuffleIfffffNS_5TupleIJffEEEfNS_16tensor_operation12element_wise11PassThroughES6_NS5_14AddAddFastGeluELi1ELi256ELi256ELi128ELi32ELi8ELi8ELi16ELi16ELi8ELi2ENS_8SequenceIJLi4ELi64ELi1EEEENS8_IJLi1ELi0ELi2EEEESA_Li2ELi4ELi4ELb0ELi1ES9_SA_SA_Li2ELi4ELi4ELb0ELi1ELi1ELi1ENS8_IJLi1ELi32ELi1ELi8EEEELi2ELNS_13LoopSchedulerE0ELNS_15PipelineVersionE0EfLb0EEEffNS2_IJPKfSG_EEEfS6_S6_S7_NS_16TensorDescriptorINS2_IJNS_5EmbedINS2_IJiiEEENS2_IJiNS_17integral_constantIiLi1EEEEEELb0EEENS_11PassThroughIiEESQ_NS_7UnMergeINS2_IJiNSL_IiLi8EEEEEELb0EEESQ_EEENS2_IJNS8_IJLi0EEEENS8_IJLi1EEEENS8_IJLi2EEEENS8_IJLi4EEEENS8_IJLi3EEEEEEENS2_IJNS8_IJLi1ELi2EEEES10_SZ_NS8_IJLi5ELi6EEEENS8_IJLi7EEEEEEENS8_IJLi5ELi7ELi6EEEElEES17_NS2_IJNSI_INS2_IJSO_SQ_SQ_NSR_INS2_IJiNSL_IiLi256EEEEEELb0EEENSR_INS2_IJiNSL_IiLi128EEEEEELb0EEEEEENS2_IJSW_SX_SY_S10_SZ_EEENS2_IJS12_S10_SZ_S13_NS8_IJLi7ELi8EEEEEEENS8_IJLi5ELi6ELi7ELi8EEEElEES1J_EEES1J_NS_31BlockToCTileMap_M00_N0_M01AdaptILi256ELi128ENSI_INS2_IJSO_SQ_SQ_EEENS2_IJSW_SX_SY_EEENS2_IJS12_S10_SZ_EEENS8_IJLi3ELi4EEEElEEiEELb1EEEvPKT0_PKT1_T2_PT3_T4_T5_T6_T7_T8_T9_T10_T11_.has_recursion, 0
	.set _ZN2ck35kernel_gemm_multiple_d_xdl_cshuffleINS_34GridwiseGemmMultipleD_xdl_cshuffleIfffffNS_5TupleIJffEEEfNS_16tensor_operation12element_wise11PassThroughES6_NS5_14AddAddFastGeluELi1ELi256ELi256ELi128ELi32ELi8ELi8ELi16ELi16ELi8ELi2ENS_8SequenceIJLi4ELi64ELi1EEEENS8_IJLi1ELi0ELi2EEEESA_Li2ELi4ELi4ELb0ELi1ES9_SA_SA_Li2ELi4ELi4ELb0ELi1ELi1ELi1ENS8_IJLi1ELi32ELi1ELi8EEEELi2ELNS_13LoopSchedulerE0ELNS_15PipelineVersionE0EfLb0EEEffNS2_IJPKfSG_EEEfS6_S6_S7_NS_16TensorDescriptorINS2_IJNS_5EmbedINS2_IJiiEEENS2_IJiNS_17integral_constantIiLi1EEEEEELb0EEENS_11PassThroughIiEESQ_NS_7UnMergeINS2_IJiNSL_IiLi8EEEEEELb0EEESQ_EEENS2_IJNS8_IJLi0EEEENS8_IJLi1EEEENS8_IJLi2EEEENS8_IJLi4EEEENS8_IJLi3EEEEEEENS2_IJNS8_IJLi1ELi2EEEES10_SZ_NS8_IJLi5ELi6EEEENS8_IJLi7EEEEEEENS8_IJLi5ELi7ELi6EEEElEES17_NS2_IJNSI_INS2_IJSO_SQ_SQ_NSR_INS2_IJiNSL_IiLi256EEEEEELb0EEENSR_INS2_IJiNSL_IiLi128EEEEEELb0EEEEEENS2_IJSW_SX_SY_S10_SZ_EEENS2_IJS12_S10_SZ_S13_NS8_IJLi7ELi8EEEEEEENS8_IJLi5ELi6ELi7ELi8EEEElEES1J_EEES1J_NS_31BlockToCTileMap_M00_N0_M01AdaptILi256ELi128ENSI_INS2_IJSO_SQ_SQ_EEENS2_IJSW_SX_SY_EEENS2_IJS12_S10_SZ_EEENS8_IJLi3ELi4EEEElEEiEELb1EEEvPKT0_PKT1_T2_PT3_T4_T5_T6_T7_T8_T9_T10_T11_.has_indirect_call, 0
	.section	.AMDGPU.csdata,"",@progbits
; Kernel info:
; codeLenInByte = 4
; TotalNumSgprs: 6
; NumVgprs: 0
; NumAgprs: 0
; TotalNumVgprs: 0
; ScratchSize: 0
; MemoryBound: 0
; FloatMode: 240
; IeeeMode: 1
; LDSByteSize: 0 bytes/workgroup (compile time only)
; SGPRBlocks: 0
; VGPRBlocks: 0
; NumSGPRsForWavesPerEU: 6
; NumVGPRsForWavesPerEU: 1
; AccumOffset: 4
; Occupancy: 8
; WaveLimiterHint : 0
; COMPUTE_PGM_RSRC2:SCRATCH_EN: 0
; COMPUTE_PGM_RSRC2:USER_SGPR: 2
; COMPUTE_PGM_RSRC2:TRAP_HANDLER: 0
; COMPUTE_PGM_RSRC2:TGID_X_EN: 1
; COMPUTE_PGM_RSRC2:TGID_Y_EN: 0
; COMPUTE_PGM_RSRC2:TGID_Z_EN: 0
; COMPUTE_PGM_RSRC2:TIDIG_COMP_CNT: 0
; COMPUTE_PGM_RSRC3_GFX90A:ACCUM_OFFSET: 0
; COMPUTE_PGM_RSRC3_GFX90A:TG_SPLIT: 0
	.section	.text._ZN2ck35kernel_gemm_multiple_d_xdl_cshuffleINS_34GridwiseGemmMultipleD_xdl_cshuffleIfffffNS_5TupleIJffEEEfNS_16tensor_operation12element_wise11PassThroughES6_NS5_14AddAddFastGeluELi1ELi256ELi256ELi128ELi32ELi8ELi8ELi16ELi16ELi8ELi2ENS_8SequenceIJLi4ELi64ELi1EEEENS8_IJLi1ELi0ELi2EEEESA_Li2ELi4ELi4ELb0ELi1ES9_SA_SA_Li2ELi4ELi4ELb0ELi1ELi1ELi1ENS8_IJLi1ELi32ELi1ELi8EEEELi2ELNS_13LoopSchedulerE0ELNS_15PipelineVersionE0EfLb0EEEffNS2_IJPKfSG_EEEfS6_S6_S7_NS_16TensorDescriptorINS2_IJNS_5EmbedINS2_IJiiEEENS2_IJiNS_17integral_constantIiLi1EEEEEELb0EEENS_11PassThroughIiEESQ_NS_7UnMergeINS2_IJiNSL_IiLi8EEEEEELb0EEESQ_EEENS2_IJNS8_IJLi0EEEENS8_IJLi1EEEENS8_IJLi2EEEENS8_IJLi4EEEENS8_IJLi3EEEEEEENS2_IJNS8_IJLi1ELi2EEEES10_SZ_NS8_IJLi5ELi6EEEENS8_IJLi7EEEEEEENS8_IJLi5ELi7ELi6EEEElEES17_NS2_IJNSI_INS2_IJSO_SQ_SQ_NSR_INS2_IJiNSL_IiLi256EEEEEELb0EEENSR_INS2_IJiNSL_IiLi128EEEEEELb0EEEEEENS2_IJSW_SX_SY_S10_SZ_EEENS2_IJS12_S10_SZ_S13_NS8_IJLi7ELi8EEEEEEENS8_IJLi5ELi6ELi7ELi8EEEElEES1J_EEES1J_NS_31BlockToCTileMap_M00_N0_M01AdaptILi256ELi128ENSI_INS2_IJSO_SQ_SQ_EEENS2_IJSW_SX_SY_EEENS2_IJS12_S10_SZ_EEENS8_IJLi3ELi4EEEElEEiEELb0EEEvPKT0_PKT1_T2_PT3_T4_T5_T6_T7_T8_T9_T10_T11_,"axG",@progbits,_ZN2ck35kernel_gemm_multiple_d_xdl_cshuffleINS_34GridwiseGemmMultipleD_xdl_cshuffleIfffffNS_5TupleIJffEEEfNS_16tensor_operation12element_wise11PassThroughES6_NS5_14AddAddFastGeluELi1ELi256ELi256ELi128ELi32ELi8ELi8ELi16ELi16ELi8ELi2ENS_8SequenceIJLi4ELi64ELi1EEEENS8_IJLi1ELi0ELi2EEEESA_Li2ELi4ELi4ELb0ELi1ES9_SA_SA_Li2ELi4ELi4ELb0ELi1ELi1ELi1ENS8_IJLi1ELi32ELi1ELi8EEEELi2ELNS_13LoopSchedulerE0ELNS_15PipelineVersionE0EfLb0EEEffNS2_IJPKfSG_EEEfS6_S6_S7_NS_16TensorDescriptorINS2_IJNS_5EmbedINS2_IJiiEEENS2_IJiNS_17integral_constantIiLi1EEEEEELb0EEENS_11PassThroughIiEESQ_NS_7UnMergeINS2_IJiNSL_IiLi8EEEEEELb0EEESQ_EEENS2_IJNS8_IJLi0EEEENS8_IJLi1EEEENS8_IJLi2EEEENS8_IJLi4EEEENS8_IJLi3EEEEEEENS2_IJNS8_IJLi1ELi2EEEES10_SZ_NS8_IJLi5ELi6EEEENS8_IJLi7EEEEEEENS8_IJLi5ELi7ELi6EEEElEES17_NS2_IJNSI_INS2_IJSO_SQ_SQ_NSR_INS2_IJiNSL_IiLi256EEEEEELb0EEENSR_INS2_IJiNSL_IiLi128EEEEEELb0EEEEEENS2_IJSW_SX_SY_S10_SZ_EEENS2_IJS12_S10_SZ_S13_NS8_IJLi7ELi8EEEEEEENS8_IJLi5ELi6ELi7ELi8EEEElEES1J_EEES1J_NS_31BlockToCTileMap_M00_N0_M01AdaptILi256ELi128ENSI_INS2_IJSO_SQ_SQ_EEENS2_IJSW_SX_SY_EEENS2_IJS12_S10_SZ_EEENS8_IJLi3ELi4EEEElEEiEELb0EEEvPKT0_PKT1_T2_PT3_T4_T5_T6_T7_T8_T9_T10_T11_,comdat
	.protected	_ZN2ck35kernel_gemm_multiple_d_xdl_cshuffleINS_34GridwiseGemmMultipleD_xdl_cshuffleIfffffNS_5TupleIJffEEEfNS_16tensor_operation12element_wise11PassThroughES6_NS5_14AddAddFastGeluELi1ELi256ELi256ELi128ELi32ELi8ELi8ELi16ELi16ELi8ELi2ENS_8SequenceIJLi4ELi64ELi1EEEENS8_IJLi1ELi0ELi2EEEESA_Li2ELi4ELi4ELb0ELi1ES9_SA_SA_Li2ELi4ELi4ELb0ELi1ELi1ELi1ENS8_IJLi1ELi32ELi1ELi8EEEELi2ELNS_13LoopSchedulerE0ELNS_15PipelineVersionE0EfLb0EEEffNS2_IJPKfSG_EEEfS6_S6_S7_NS_16TensorDescriptorINS2_IJNS_5EmbedINS2_IJiiEEENS2_IJiNS_17integral_constantIiLi1EEEEEELb0EEENS_11PassThroughIiEESQ_NS_7UnMergeINS2_IJiNSL_IiLi8EEEEEELb0EEESQ_EEENS2_IJNS8_IJLi0EEEENS8_IJLi1EEEENS8_IJLi2EEEENS8_IJLi4EEEENS8_IJLi3EEEEEEENS2_IJNS8_IJLi1ELi2EEEES10_SZ_NS8_IJLi5ELi6EEEENS8_IJLi7EEEEEEENS8_IJLi5ELi7ELi6EEEElEES17_NS2_IJNSI_INS2_IJSO_SQ_SQ_NSR_INS2_IJiNSL_IiLi256EEEEEELb0EEENSR_INS2_IJiNSL_IiLi128EEEEEELb0EEEEEENS2_IJSW_SX_SY_S10_SZ_EEENS2_IJS12_S10_SZ_S13_NS8_IJLi7ELi8EEEEEEENS8_IJLi5ELi6ELi7ELi8EEEElEES1J_EEES1J_NS_31BlockToCTileMap_M00_N0_M01AdaptILi256ELi128ENSI_INS2_IJSO_SQ_SQ_EEENS2_IJSW_SX_SY_EEENS2_IJS12_S10_SZ_EEENS8_IJLi3ELi4EEEElEEiEELb0EEEvPKT0_PKT1_T2_PT3_T4_T5_T6_T7_T8_T9_T10_T11_ ; -- Begin function _ZN2ck35kernel_gemm_multiple_d_xdl_cshuffleINS_34GridwiseGemmMultipleD_xdl_cshuffleIfffffNS_5TupleIJffEEEfNS_16tensor_operation12element_wise11PassThroughES6_NS5_14AddAddFastGeluELi1ELi256ELi256ELi128ELi32ELi8ELi8ELi16ELi16ELi8ELi2ENS_8SequenceIJLi4ELi64ELi1EEEENS8_IJLi1ELi0ELi2EEEESA_Li2ELi4ELi4ELb0ELi1ES9_SA_SA_Li2ELi4ELi4ELb0ELi1ELi1ELi1ENS8_IJLi1ELi32ELi1ELi8EEEELi2ELNS_13LoopSchedulerE0ELNS_15PipelineVersionE0EfLb0EEEffNS2_IJPKfSG_EEEfS6_S6_S7_NS_16TensorDescriptorINS2_IJNS_5EmbedINS2_IJiiEEENS2_IJiNS_17integral_constantIiLi1EEEEEELb0EEENS_11PassThroughIiEESQ_NS_7UnMergeINS2_IJiNSL_IiLi8EEEEEELb0EEESQ_EEENS2_IJNS8_IJLi0EEEENS8_IJLi1EEEENS8_IJLi2EEEENS8_IJLi4EEEENS8_IJLi3EEEEEEENS2_IJNS8_IJLi1ELi2EEEES10_SZ_NS8_IJLi5ELi6EEEENS8_IJLi7EEEEEEENS8_IJLi5ELi7ELi6EEEElEES17_NS2_IJNSI_INS2_IJSO_SQ_SQ_NSR_INS2_IJiNSL_IiLi256EEEEEELb0EEENSR_INS2_IJiNSL_IiLi128EEEEEELb0EEEEEENS2_IJSW_SX_SY_S10_SZ_EEENS2_IJS12_S10_SZ_S13_NS8_IJLi7ELi8EEEEEEENS8_IJLi5ELi6ELi7ELi8EEEElEES1J_EEES1J_NS_31BlockToCTileMap_M00_N0_M01AdaptILi256ELi128ENSI_INS2_IJSO_SQ_SQ_EEENS2_IJSW_SX_SY_EEENS2_IJS12_S10_SZ_EEENS8_IJLi3ELi4EEEElEEiEELb0EEEvPKT0_PKT1_T2_PT3_T4_T5_T6_T7_T8_T9_T10_T11_
	.globl	_ZN2ck35kernel_gemm_multiple_d_xdl_cshuffleINS_34GridwiseGemmMultipleD_xdl_cshuffleIfffffNS_5TupleIJffEEEfNS_16tensor_operation12element_wise11PassThroughES6_NS5_14AddAddFastGeluELi1ELi256ELi256ELi128ELi32ELi8ELi8ELi16ELi16ELi8ELi2ENS_8SequenceIJLi4ELi64ELi1EEEENS8_IJLi1ELi0ELi2EEEESA_Li2ELi4ELi4ELb0ELi1ES9_SA_SA_Li2ELi4ELi4ELb0ELi1ELi1ELi1ENS8_IJLi1ELi32ELi1ELi8EEEELi2ELNS_13LoopSchedulerE0ELNS_15PipelineVersionE0EfLb0EEEffNS2_IJPKfSG_EEEfS6_S6_S7_NS_16TensorDescriptorINS2_IJNS_5EmbedINS2_IJiiEEENS2_IJiNS_17integral_constantIiLi1EEEEEELb0EEENS_11PassThroughIiEESQ_NS_7UnMergeINS2_IJiNSL_IiLi8EEEEEELb0EEESQ_EEENS2_IJNS8_IJLi0EEEENS8_IJLi1EEEENS8_IJLi2EEEENS8_IJLi4EEEENS8_IJLi3EEEEEEENS2_IJNS8_IJLi1ELi2EEEES10_SZ_NS8_IJLi5ELi6EEEENS8_IJLi7EEEEEEENS8_IJLi5ELi7ELi6EEEElEES17_NS2_IJNSI_INS2_IJSO_SQ_SQ_NSR_INS2_IJiNSL_IiLi256EEEEEELb0EEENSR_INS2_IJiNSL_IiLi128EEEEEELb0EEEEEENS2_IJSW_SX_SY_S10_SZ_EEENS2_IJS12_S10_SZ_S13_NS8_IJLi7ELi8EEEEEEENS8_IJLi5ELi6ELi7ELi8EEEElEES1J_EEES1J_NS_31BlockToCTileMap_M00_N0_M01AdaptILi256ELi128ENSI_INS2_IJSO_SQ_SQ_EEENS2_IJSW_SX_SY_EEENS2_IJS12_S10_SZ_EEENS8_IJLi3ELi4EEEElEEiEELb0EEEvPKT0_PKT1_T2_PT3_T4_T5_T6_T7_T8_T9_T10_T11_
	.p2align	8
	.type	_ZN2ck35kernel_gemm_multiple_d_xdl_cshuffleINS_34GridwiseGemmMultipleD_xdl_cshuffleIfffffNS_5TupleIJffEEEfNS_16tensor_operation12element_wise11PassThroughES6_NS5_14AddAddFastGeluELi1ELi256ELi256ELi128ELi32ELi8ELi8ELi16ELi16ELi8ELi2ENS_8SequenceIJLi4ELi64ELi1EEEENS8_IJLi1ELi0ELi2EEEESA_Li2ELi4ELi4ELb0ELi1ES9_SA_SA_Li2ELi4ELi4ELb0ELi1ELi1ELi1ENS8_IJLi1ELi32ELi1ELi8EEEELi2ELNS_13LoopSchedulerE0ELNS_15PipelineVersionE0EfLb0EEEffNS2_IJPKfSG_EEEfS6_S6_S7_NS_16TensorDescriptorINS2_IJNS_5EmbedINS2_IJiiEEENS2_IJiNS_17integral_constantIiLi1EEEEEELb0EEENS_11PassThroughIiEESQ_NS_7UnMergeINS2_IJiNSL_IiLi8EEEEEELb0EEESQ_EEENS2_IJNS8_IJLi0EEEENS8_IJLi1EEEENS8_IJLi2EEEENS8_IJLi4EEEENS8_IJLi3EEEEEEENS2_IJNS8_IJLi1ELi2EEEES10_SZ_NS8_IJLi5ELi6EEEENS8_IJLi7EEEEEEENS8_IJLi5ELi7ELi6EEEElEES17_NS2_IJNSI_INS2_IJSO_SQ_SQ_NSR_INS2_IJiNSL_IiLi256EEEEEELb0EEENSR_INS2_IJiNSL_IiLi128EEEEEELb0EEEEEENS2_IJSW_SX_SY_S10_SZ_EEENS2_IJS12_S10_SZ_S13_NS8_IJLi7ELi8EEEEEEENS8_IJLi5ELi6ELi7ELi8EEEElEES1J_EEES1J_NS_31BlockToCTileMap_M00_N0_M01AdaptILi256ELi128ENSI_INS2_IJSO_SQ_SQ_EEENS2_IJSW_SX_SY_EEENS2_IJS12_S10_SZ_EEENS8_IJLi3ELi4EEEElEEiEELb0EEEvPKT0_PKT1_T2_PT3_T4_T5_T6_T7_T8_T9_T10_T11_,@function
_ZN2ck35kernel_gemm_multiple_d_xdl_cshuffleINS_34GridwiseGemmMultipleD_xdl_cshuffleIfffffNS_5TupleIJffEEEfNS_16tensor_operation12element_wise11PassThroughES6_NS5_14AddAddFastGeluELi1ELi256ELi256ELi128ELi32ELi8ELi8ELi16ELi16ELi8ELi2ENS_8SequenceIJLi4ELi64ELi1EEEENS8_IJLi1ELi0ELi2EEEESA_Li2ELi4ELi4ELb0ELi1ES9_SA_SA_Li2ELi4ELi4ELb0ELi1ELi1ELi1ENS8_IJLi1ELi32ELi1ELi8EEEELi2ELNS_13LoopSchedulerE0ELNS_15PipelineVersionE0EfLb0EEEffNS2_IJPKfSG_EEEfS6_S6_S7_NS_16TensorDescriptorINS2_IJNS_5EmbedINS2_IJiiEEENS2_IJiNS_17integral_constantIiLi1EEEEEELb0EEENS_11PassThroughIiEESQ_NS_7UnMergeINS2_IJiNSL_IiLi8EEEEEELb0EEESQ_EEENS2_IJNS8_IJLi0EEEENS8_IJLi1EEEENS8_IJLi2EEEENS8_IJLi4EEEENS8_IJLi3EEEEEEENS2_IJNS8_IJLi1ELi2EEEES10_SZ_NS8_IJLi5ELi6EEEENS8_IJLi7EEEEEEENS8_IJLi5ELi7ELi6EEEElEES17_NS2_IJNSI_INS2_IJSO_SQ_SQ_NSR_INS2_IJiNSL_IiLi256EEEEEELb0EEENSR_INS2_IJiNSL_IiLi128EEEEEELb0EEEEEENS2_IJSW_SX_SY_S10_SZ_EEENS2_IJS12_S10_SZ_S13_NS8_IJLi7ELi8EEEEEEENS8_IJLi5ELi6ELi7ELi8EEEElEES1J_EEES1J_NS_31BlockToCTileMap_M00_N0_M01AdaptILi256ELi128ENSI_INS2_IJSO_SQ_SQ_EEENS2_IJSW_SX_SY_EEENS2_IJS12_S10_SZ_EEENS8_IJLi3ELi4EEEElEEiEELb0EEEvPKT0_PKT1_T2_PT3_T4_T5_T6_T7_T8_T9_T10_T11_: ; @_ZN2ck35kernel_gemm_multiple_d_xdl_cshuffleINS_34GridwiseGemmMultipleD_xdl_cshuffleIfffffNS_5TupleIJffEEEfNS_16tensor_operation12element_wise11PassThroughES6_NS5_14AddAddFastGeluELi1ELi256ELi256ELi128ELi32ELi8ELi8ELi16ELi16ELi8ELi2ENS_8SequenceIJLi4ELi64ELi1EEEENS8_IJLi1ELi0ELi2EEEESA_Li2ELi4ELi4ELb0ELi1ES9_SA_SA_Li2ELi4ELi4ELb0ELi1ELi1ELi1ENS8_IJLi1ELi32ELi1ELi8EEEELi2ELNS_13LoopSchedulerE0ELNS_15PipelineVersionE0EfLb0EEEffNS2_IJPKfSG_EEEfS6_S6_S7_NS_16TensorDescriptorINS2_IJNS_5EmbedINS2_IJiiEEENS2_IJiNS_17integral_constantIiLi1EEEEEELb0EEENS_11PassThroughIiEESQ_NS_7UnMergeINS2_IJiNSL_IiLi8EEEEEELb0EEESQ_EEENS2_IJNS8_IJLi0EEEENS8_IJLi1EEEENS8_IJLi2EEEENS8_IJLi4EEEENS8_IJLi3EEEEEEENS2_IJNS8_IJLi1ELi2EEEES10_SZ_NS8_IJLi5ELi6EEEENS8_IJLi7EEEEEEENS8_IJLi5ELi7ELi6EEEElEES17_NS2_IJNSI_INS2_IJSO_SQ_SQ_NSR_INS2_IJiNSL_IiLi256EEEEEELb0EEENSR_INS2_IJiNSL_IiLi128EEEEEELb0EEEEEENS2_IJSW_SX_SY_S10_SZ_EEENS2_IJS12_S10_SZ_S13_NS8_IJLi7ELi8EEEEEEENS8_IJLi5ELi6ELi7ELi8EEEElEES1J_EEES1J_NS_31BlockToCTileMap_M00_N0_M01AdaptILi256ELi128ENSI_INS2_IJSO_SQ_SQ_EEENS2_IJSW_SX_SY_EEENS2_IJS12_S10_SZ_EEENS8_IJLi3ELi4EEEElEEiEELb0EEEvPKT0_PKT1_T2_PT3_T4_T5_T6_T7_T8_T9_T10_T11_
; %bb.0:
	s_endpgm
	.section	.rodata,"a",@progbits
	.p2align	6, 0x0
	.amdhsa_kernel _ZN2ck35kernel_gemm_multiple_d_xdl_cshuffleINS_34GridwiseGemmMultipleD_xdl_cshuffleIfffffNS_5TupleIJffEEEfNS_16tensor_operation12element_wise11PassThroughES6_NS5_14AddAddFastGeluELi1ELi256ELi256ELi128ELi32ELi8ELi8ELi16ELi16ELi8ELi2ENS_8SequenceIJLi4ELi64ELi1EEEENS8_IJLi1ELi0ELi2EEEESA_Li2ELi4ELi4ELb0ELi1ES9_SA_SA_Li2ELi4ELi4ELb0ELi1ELi1ELi1ENS8_IJLi1ELi32ELi1ELi8EEEELi2ELNS_13LoopSchedulerE0ELNS_15PipelineVersionE0EfLb0EEEffNS2_IJPKfSG_EEEfS6_S6_S7_NS_16TensorDescriptorINS2_IJNS_5EmbedINS2_IJiiEEENS2_IJiNS_17integral_constantIiLi1EEEEEELb0EEENS_11PassThroughIiEESQ_NS_7UnMergeINS2_IJiNSL_IiLi8EEEEEELb0EEESQ_EEENS2_IJNS8_IJLi0EEEENS8_IJLi1EEEENS8_IJLi2EEEENS8_IJLi4EEEENS8_IJLi3EEEEEEENS2_IJNS8_IJLi1ELi2EEEES10_SZ_NS8_IJLi5ELi6EEEENS8_IJLi7EEEEEEENS8_IJLi5ELi7ELi6EEEElEES17_NS2_IJNSI_INS2_IJSO_SQ_SQ_NSR_INS2_IJiNSL_IiLi256EEEEEELb0EEENSR_INS2_IJiNSL_IiLi128EEEEEELb0EEEEEENS2_IJSW_SX_SY_S10_SZ_EEENS2_IJS12_S10_SZ_S13_NS8_IJLi7ELi8EEEEEEENS8_IJLi5ELi6ELi7ELi8EEEElEES1J_EEES1J_NS_31BlockToCTileMap_M00_N0_M01AdaptILi256ELi128ENSI_INS2_IJSO_SQ_SQ_EEENS2_IJSW_SX_SY_EEENS2_IJS12_S10_SZ_EEENS8_IJLi3ELi4EEEElEEiEELb0EEEvPKT0_PKT1_T2_PT3_T4_T5_T6_T7_T8_T9_T10_T11_
		.amdhsa_group_segment_fixed_size 0
		.amdhsa_private_segment_fixed_size 0
		.amdhsa_kernarg_size 364
		.amdhsa_user_sgpr_count 2
		.amdhsa_user_sgpr_dispatch_ptr 0
		.amdhsa_user_sgpr_queue_ptr 0
		.amdhsa_user_sgpr_kernarg_segment_ptr 1
		.amdhsa_user_sgpr_dispatch_id 0
		.amdhsa_user_sgpr_kernarg_preload_length 0
		.amdhsa_user_sgpr_kernarg_preload_offset 0
		.amdhsa_user_sgpr_private_segment_size 0
		.amdhsa_uses_dynamic_stack 0
		.amdhsa_enable_private_segment 0
		.amdhsa_system_sgpr_workgroup_id_x 1
		.amdhsa_system_sgpr_workgroup_id_y 0
		.amdhsa_system_sgpr_workgroup_id_z 0
		.amdhsa_system_sgpr_workgroup_info 0
		.amdhsa_system_vgpr_workitem_id 0
		.amdhsa_next_free_vgpr 1
		.amdhsa_next_free_sgpr 0
		.amdhsa_accum_offset 4
		.amdhsa_reserve_vcc 0
		.amdhsa_float_round_mode_32 0
		.amdhsa_float_round_mode_16_64 0
		.amdhsa_float_denorm_mode_32 3
		.amdhsa_float_denorm_mode_16_64 3
		.amdhsa_dx10_clamp 1
		.amdhsa_ieee_mode 1
		.amdhsa_fp16_overflow 0
		.amdhsa_tg_split 0
		.amdhsa_exception_fp_ieee_invalid_op 0
		.amdhsa_exception_fp_denorm_src 0
		.amdhsa_exception_fp_ieee_div_zero 0
		.amdhsa_exception_fp_ieee_overflow 0
		.amdhsa_exception_fp_ieee_underflow 0
		.amdhsa_exception_fp_ieee_inexact 0
		.amdhsa_exception_int_div_zero 0
	.end_amdhsa_kernel
	.section	.text._ZN2ck35kernel_gemm_multiple_d_xdl_cshuffleINS_34GridwiseGemmMultipleD_xdl_cshuffleIfffffNS_5TupleIJffEEEfNS_16tensor_operation12element_wise11PassThroughES6_NS5_14AddAddFastGeluELi1ELi256ELi256ELi128ELi32ELi8ELi8ELi16ELi16ELi8ELi2ENS_8SequenceIJLi4ELi64ELi1EEEENS8_IJLi1ELi0ELi2EEEESA_Li2ELi4ELi4ELb0ELi1ES9_SA_SA_Li2ELi4ELi4ELb0ELi1ELi1ELi1ENS8_IJLi1ELi32ELi1ELi8EEEELi2ELNS_13LoopSchedulerE0ELNS_15PipelineVersionE0EfLb0EEEffNS2_IJPKfSG_EEEfS6_S6_S7_NS_16TensorDescriptorINS2_IJNS_5EmbedINS2_IJiiEEENS2_IJiNS_17integral_constantIiLi1EEEEEELb0EEENS_11PassThroughIiEESQ_NS_7UnMergeINS2_IJiNSL_IiLi8EEEEEELb0EEESQ_EEENS2_IJNS8_IJLi0EEEENS8_IJLi1EEEENS8_IJLi2EEEENS8_IJLi4EEEENS8_IJLi3EEEEEEENS2_IJNS8_IJLi1ELi2EEEES10_SZ_NS8_IJLi5ELi6EEEENS8_IJLi7EEEEEEENS8_IJLi5ELi7ELi6EEEElEES17_NS2_IJNSI_INS2_IJSO_SQ_SQ_NSR_INS2_IJiNSL_IiLi256EEEEEELb0EEENSR_INS2_IJiNSL_IiLi128EEEEEELb0EEEEEENS2_IJSW_SX_SY_S10_SZ_EEENS2_IJS12_S10_SZ_S13_NS8_IJLi7ELi8EEEEEEENS8_IJLi5ELi6ELi7ELi8EEEElEES1J_EEES1J_NS_31BlockToCTileMap_M00_N0_M01AdaptILi256ELi128ENSI_INS2_IJSO_SQ_SQ_EEENS2_IJSW_SX_SY_EEENS2_IJS12_S10_SZ_EEENS8_IJLi3ELi4EEEElEEiEELb0EEEvPKT0_PKT1_T2_PT3_T4_T5_T6_T7_T8_T9_T10_T11_,"axG",@progbits,_ZN2ck35kernel_gemm_multiple_d_xdl_cshuffleINS_34GridwiseGemmMultipleD_xdl_cshuffleIfffffNS_5TupleIJffEEEfNS_16tensor_operation12element_wise11PassThroughES6_NS5_14AddAddFastGeluELi1ELi256ELi256ELi128ELi32ELi8ELi8ELi16ELi16ELi8ELi2ENS_8SequenceIJLi4ELi64ELi1EEEENS8_IJLi1ELi0ELi2EEEESA_Li2ELi4ELi4ELb0ELi1ES9_SA_SA_Li2ELi4ELi4ELb0ELi1ELi1ELi1ENS8_IJLi1ELi32ELi1ELi8EEEELi2ELNS_13LoopSchedulerE0ELNS_15PipelineVersionE0EfLb0EEEffNS2_IJPKfSG_EEEfS6_S6_S7_NS_16TensorDescriptorINS2_IJNS_5EmbedINS2_IJiiEEENS2_IJiNS_17integral_constantIiLi1EEEEEELb0EEENS_11PassThroughIiEESQ_NS_7UnMergeINS2_IJiNSL_IiLi8EEEEEELb0EEESQ_EEENS2_IJNS8_IJLi0EEEENS8_IJLi1EEEENS8_IJLi2EEEENS8_IJLi4EEEENS8_IJLi3EEEEEEENS2_IJNS8_IJLi1ELi2EEEES10_SZ_NS8_IJLi5ELi6EEEENS8_IJLi7EEEEEEENS8_IJLi5ELi7ELi6EEEElEES17_NS2_IJNSI_INS2_IJSO_SQ_SQ_NSR_INS2_IJiNSL_IiLi256EEEEEELb0EEENSR_INS2_IJiNSL_IiLi128EEEEEELb0EEEEEENS2_IJSW_SX_SY_S10_SZ_EEENS2_IJS12_S10_SZ_S13_NS8_IJLi7ELi8EEEEEEENS8_IJLi5ELi6ELi7ELi8EEEElEES1J_EEES1J_NS_31BlockToCTileMap_M00_N0_M01AdaptILi256ELi128ENSI_INS2_IJSO_SQ_SQ_EEENS2_IJSW_SX_SY_EEENS2_IJS12_S10_SZ_EEENS8_IJLi3ELi4EEEElEEiEELb0EEEvPKT0_PKT1_T2_PT3_T4_T5_T6_T7_T8_T9_T10_T11_,comdat
.Lfunc_end4:
	.size	_ZN2ck35kernel_gemm_multiple_d_xdl_cshuffleINS_34GridwiseGemmMultipleD_xdl_cshuffleIfffffNS_5TupleIJffEEEfNS_16tensor_operation12element_wise11PassThroughES6_NS5_14AddAddFastGeluELi1ELi256ELi256ELi128ELi32ELi8ELi8ELi16ELi16ELi8ELi2ENS_8SequenceIJLi4ELi64ELi1EEEENS8_IJLi1ELi0ELi2EEEESA_Li2ELi4ELi4ELb0ELi1ES9_SA_SA_Li2ELi4ELi4ELb0ELi1ELi1ELi1ENS8_IJLi1ELi32ELi1ELi8EEEELi2ELNS_13LoopSchedulerE0ELNS_15PipelineVersionE0EfLb0EEEffNS2_IJPKfSG_EEEfS6_S6_S7_NS_16TensorDescriptorINS2_IJNS_5EmbedINS2_IJiiEEENS2_IJiNS_17integral_constantIiLi1EEEEEELb0EEENS_11PassThroughIiEESQ_NS_7UnMergeINS2_IJiNSL_IiLi8EEEEEELb0EEESQ_EEENS2_IJNS8_IJLi0EEEENS8_IJLi1EEEENS8_IJLi2EEEENS8_IJLi4EEEENS8_IJLi3EEEEEEENS2_IJNS8_IJLi1ELi2EEEES10_SZ_NS8_IJLi5ELi6EEEENS8_IJLi7EEEEEEENS8_IJLi5ELi7ELi6EEEElEES17_NS2_IJNSI_INS2_IJSO_SQ_SQ_NSR_INS2_IJiNSL_IiLi256EEEEEELb0EEENSR_INS2_IJiNSL_IiLi128EEEEEELb0EEEEEENS2_IJSW_SX_SY_S10_SZ_EEENS2_IJS12_S10_SZ_S13_NS8_IJLi7ELi8EEEEEEENS8_IJLi5ELi6ELi7ELi8EEEElEES1J_EEES1J_NS_31BlockToCTileMap_M00_N0_M01AdaptILi256ELi128ENSI_INS2_IJSO_SQ_SQ_EEENS2_IJSW_SX_SY_EEENS2_IJS12_S10_SZ_EEENS8_IJLi3ELi4EEEElEEiEELb0EEEvPKT0_PKT1_T2_PT3_T4_T5_T6_T7_T8_T9_T10_T11_, .Lfunc_end4-_ZN2ck35kernel_gemm_multiple_d_xdl_cshuffleINS_34GridwiseGemmMultipleD_xdl_cshuffleIfffffNS_5TupleIJffEEEfNS_16tensor_operation12element_wise11PassThroughES6_NS5_14AddAddFastGeluELi1ELi256ELi256ELi128ELi32ELi8ELi8ELi16ELi16ELi8ELi2ENS_8SequenceIJLi4ELi64ELi1EEEENS8_IJLi1ELi0ELi2EEEESA_Li2ELi4ELi4ELb0ELi1ES9_SA_SA_Li2ELi4ELi4ELb0ELi1ELi1ELi1ENS8_IJLi1ELi32ELi1ELi8EEEELi2ELNS_13LoopSchedulerE0ELNS_15PipelineVersionE0EfLb0EEEffNS2_IJPKfSG_EEEfS6_S6_S7_NS_16TensorDescriptorINS2_IJNS_5EmbedINS2_IJiiEEENS2_IJiNS_17integral_constantIiLi1EEEEEELb0EEENS_11PassThroughIiEESQ_NS_7UnMergeINS2_IJiNSL_IiLi8EEEEEELb0EEESQ_EEENS2_IJNS8_IJLi0EEEENS8_IJLi1EEEENS8_IJLi2EEEENS8_IJLi4EEEENS8_IJLi3EEEEEEENS2_IJNS8_IJLi1ELi2EEEES10_SZ_NS8_IJLi5ELi6EEEENS8_IJLi7EEEEEEENS8_IJLi5ELi7ELi6EEEElEES17_NS2_IJNSI_INS2_IJSO_SQ_SQ_NSR_INS2_IJiNSL_IiLi256EEEEEELb0EEENSR_INS2_IJiNSL_IiLi128EEEEEELb0EEEEEENS2_IJSW_SX_SY_S10_SZ_EEENS2_IJS12_S10_SZ_S13_NS8_IJLi7ELi8EEEEEEENS8_IJLi5ELi6ELi7ELi8EEEElEES1J_EEES1J_NS_31BlockToCTileMap_M00_N0_M01AdaptILi256ELi128ENSI_INS2_IJSO_SQ_SQ_EEENS2_IJSW_SX_SY_EEENS2_IJS12_S10_SZ_EEENS8_IJLi3ELi4EEEElEEiEELb0EEEvPKT0_PKT1_T2_PT3_T4_T5_T6_T7_T8_T9_T10_T11_
                                        ; -- End function
	.set _ZN2ck35kernel_gemm_multiple_d_xdl_cshuffleINS_34GridwiseGemmMultipleD_xdl_cshuffleIfffffNS_5TupleIJffEEEfNS_16tensor_operation12element_wise11PassThroughES6_NS5_14AddAddFastGeluELi1ELi256ELi256ELi128ELi32ELi8ELi8ELi16ELi16ELi8ELi2ENS_8SequenceIJLi4ELi64ELi1EEEENS8_IJLi1ELi0ELi2EEEESA_Li2ELi4ELi4ELb0ELi1ES9_SA_SA_Li2ELi4ELi4ELb0ELi1ELi1ELi1ENS8_IJLi1ELi32ELi1ELi8EEEELi2ELNS_13LoopSchedulerE0ELNS_15PipelineVersionE0EfLb0EEEffNS2_IJPKfSG_EEEfS6_S6_S7_NS_16TensorDescriptorINS2_IJNS_5EmbedINS2_IJiiEEENS2_IJiNS_17integral_constantIiLi1EEEEEELb0EEENS_11PassThroughIiEESQ_NS_7UnMergeINS2_IJiNSL_IiLi8EEEEEELb0EEESQ_EEENS2_IJNS8_IJLi0EEEENS8_IJLi1EEEENS8_IJLi2EEEENS8_IJLi4EEEENS8_IJLi3EEEEEEENS2_IJNS8_IJLi1ELi2EEEES10_SZ_NS8_IJLi5ELi6EEEENS8_IJLi7EEEEEEENS8_IJLi5ELi7ELi6EEEElEES17_NS2_IJNSI_INS2_IJSO_SQ_SQ_NSR_INS2_IJiNSL_IiLi256EEEEEELb0EEENSR_INS2_IJiNSL_IiLi128EEEEEELb0EEEEEENS2_IJSW_SX_SY_S10_SZ_EEENS2_IJS12_S10_SZ_S13_NS8_IJLi7ELi8EEEEEEENS8_IJLi5ELi6ELi7ELi8EEEElEES1J_EEES1J_NS_31BlockToCTileMap_M00_N0_M01AdaptILi256ELi128ENSI_INS2_IJSO_SQ_SQ_EEENS2_IJSW_SX_SY_EEENS2_IJS12_S10_SZ_EEENS8_IJLi3ELi4EEEElEEiEELb0EEEvPKT0_PKT1_T2_PT3_T4_T5_T6_T7_T8_T9_T10_T11_.num_vgpr, 0
	.set _ZN2ck35kernel_gemm_multiple_d_xdl_cshuffleINS_34GridwiseGemmMultipleD_xdl_cshuffleIfffffNS_5TupleIJffEEEfNS_16tensor_operation12element_wise11PassThroughES6_NS5_14AddAddFastGeluELi1ELi256ELi256ELi128ELi32ELi8ELi8ELi16ELi16ELi8ELi2ENS_8SequenceIJLi4ELi64ELi1EEEENS8_IJLi1ELi0ELi2EEEESA_Li2ELi4ELi4ELb0ELi1ES9_SA_SA_Li2ELi4ELi4ELb0ELi1ELi1ELi1ENS8_IJLi1ELi32ELi1ELi8EEEELi2ELNS_13LoopSchedulerE0ELNS_15PipelineVersionE0EfLb0EEEffNS2_IJPKfSG_EEEfS6_S6_S7_NS_16TensorDescriptorINS2_IJNS_5EmbedINS2_IJiiEEENS2_IJiNS_17integral_constantIiLi1EEEEEELb0EEENS_11PassThroughIiEESQ_NS_7UnMergeINS2_IJiNSL_IiLi8EEEEEELb0EEESQ_EEENS2_IJNS8_IJLi0EEEENS8_IJLi1EEEENS8_IJLi2EEEENS8_IJLi4EEEENS8_IJLi3EEEEEEENS2_IJNS8_IJLi1ELi2EEEES10_SZ_NS8_IJLi5ELi6EEEENS8_IJLi7EEEEEEENS8_IJLi5ELi7ELi6EEEElEES17_NS2_IJNSI_INS2_IJSO_SQ_SQ_NSR_INS2_IJiNSL_IiLi256EEEEEELb0EEENSR_INS2_IJiNSL_IiLi128EEEEEELb0EEEEEENS2_IJSW_SX_SY_S10_SZ_EEENS2_IJS12_S10_SZ_S13_NS8_IJLi7ELi8EEEEEEENS8_IJLi5ELi6ELi7ELi8EEEElEES1J_EEES1J_NS_31BlockToCTileMap_M00_N0_M01AdaptILi256ELi128ENSI_INS2_IJSO_SQ_SQ_EEENS2_IJSW_SX_SY_EEENS2_IJS12_S10_SZ_EEENS8_IJLi3ELi4EEEElEEiEELb0EEEvPKT0_PKT1_T2_PT3_T4_T5_T6_T7_T8_T9_T10_T11_.num_agpr, 0
	.set _ZN2ck35kernel_gemm_multiple_d_xdl_cshuffleINS_34GridwiseGemmMultipleD_xdl_cshuffleIfffffNS_5TupleIJffEEEfNS_16tensor_operation12element_wise11PassThroughES6_NS5_14AddAddFastGeluELi1ELi256ELi256ELi128ELi32ELi8ELi8ELi16ELi16ELi8ELi2ENS_8SequenceIJLi4ELi64ELi1EEEENS8_IJLi1ELi0ELi2EEEESA_Li2ELi4ELi4ELb0ELi1ES9_SA_SA_Li2ELi4ELi4ELb0ELi1ELi1ELi1ENS8_IJLi1ELi32ELi1ELi8EEEELi2ELNS_13LoopSchedulerE0ELNS_15PipelineVersionE0EfLb0EEEffNS2_IJPKfSG_EEEfS6_S6_S7_NS_16TensorDescriptorINS2_IJNS_5EmbedINS2_IJiiEEENS2_IJiNS_17integral_constantIiLi1EEEEEELb0EEENS_11PassThroughIiEESQ_NS_7UnMergeINS2_IJiNSL_IiLi8EEEEEELb0EEESQ_EEENS2_IJNS8_IJLi0EEEENS8_IJLi1EEEENS8_IJLi2EEEENS8_IJLi4EEEENS8_IJLi3EEEEEEENS2_IJNS8_IJLi1ELi2EEEES10_SZ_NS8_IJLi5ELi6EEEENS8_IJLi7EEEEEEENS8_IJLi5ELi7ELi6EEEElEES17_NS2_IJNSI_INS2_IJSO_SQ_SQ_NSR_INS2_IJiNSL_IiLi256EEEEEELb0EEENSR_INS2_IJiNSL_IiLi128EEEEEELb0EEEEEENS2_IJSW_SX_SY_S10_SZ_EEENS2_IJS12_S10_SZ_S13_NS8_IJLi7ELi8EEEEEEENS8_IJLi5ELi6ELi7ELi8EEEElEES1J_EEES1J_NS_31BlockToCTileMap_M00_N0_M01AdaptILi256ELi128ENSI_INS2_IJSO_SQ_SQ_EEENS2_IJSW_SX_SY_EEENS2_IJS12_S10_SZ_EEENS8_IJLi3ELi4EEEElEEiEELb0EEEvPKT0_PKT1_T2_PT3_T4_T5_T6_T7_T8_T9_T10_T11_.numbered_sgpr, 0
	.set _ZN2ck35kernel_gemm_multiple_d_xdl_cshuffleINS_34GridwiseGemmMultipleD_xdl_cshuffleIfffffNS_5TupleIJffEEEfNS_16tensor_operation12element_wise11PassThroughES6_NS5_14AddAddFastGeluELi1ELi256ELi256ELi128ELi32ELi8ELi8ELi16ELi16ELi8ELi2ENS_8SequenceIJLi4ELi64ELi1EEEENS8_IJLi1ELi0ELi2EEEESA_Li2ELi4ELi4ELb0ELi1ES9_SA_SA_Li2ELi4ELi4ELb0ELi1ELi1ELi1ENS8_IJLi1ELi32ELi1ELi8EEEELi2ELNS_13LoopSchedulerE0ELNS_15PipelineVersionE0EfLb0EEEffNS2_IJPKfSG_EEEfS6_S6_S7_NS_16TensorDescriptorINS2_IJNS_5EmbedINS2_IJiiEEENS2_IJiNS_17integral_constantIiLi1EEEEEELb0EEENS_11PassThroughIiEESQ_NS_7UnMergeINS2_IJiNSL_IiLi8EEEEEELb0EEESQ_EEENS2_IJNS8_IJLi0EEEENS8_IJLi1EEEENS8_IJLi2EEEENS8_IJLi4EEEENS8_IJLi3EEEEEEENS2_IJNS8_IJLi1ELi2EEEES10_SZ_NS8_IJLi5ELi6EEEENS8_IJLi7EEEEEEENS8_IJLi5ELi7ELi6EEEElEES17_NS2_IJNSI_INS2_IJSO_SQ_SQ_NSR_INS2_IJiNSL_IiLi256EEEEEELb0EEENSR_INS2_IJiNSL_IiLi128EEEEEELb0EEEEEENS2_IJSW_SX_SY_S10_SZ_EEENS2_IJS12_S10_SZ_S13_NS8_IJLi7ELi8EEEEEEENS8_IJLi5ELi6ELi7ELi8EEEElEES1J_EEES1J_NS_31BlockToCTileMap_M00_N0_M01AdaptILi256ELi128ENSI_INS2_IJSO_SQ_SQ_EEENS2_IJSW_SX_SY_EEENS2_IJS12_S10_SZ_EEENS8_IJLi3ELi4EEEElEEiEELb0EEEvPKT0_PKT1_T2_PT3_T4_T5_T6_T7_T8_T9_T10_T11_.num_named_barrier, 0
	.set _ZN2ck35kernel_gemm_multiple_d_xdl_cshuffleINS_34GridwiseGemmMultipleD_xdl_cshuffleIfffffNS_5TupleIJffEEEfNS_16tensor_operation12element_wise11PassThroughES6_NS5_14AddAddFastGeluELi1ELi256ELi256ELi128ELi32ELi8ELi8ELi16ELi16ELi8ELi2ENS_8SequenceIJLi4ELi64ELi1EEEENS8_IJLi1ELi0ELi2EEEESA_Li2ELi4ELi4ELb0ELi1ES9_SA_SA_Li2ELi4ELi4ELb0ELi1ELi1ELi1ENS8_IJLi1ELi32ELi1ELi8EEEELi2ELNS_13LoopSchedulerE0ELNS_15PipelineVersionE0EfLb0EEEffNS2_IJPKfSG_EEEfS6_S6_S7_NS_16TensorDescriptorINS2_IJNS_5EmbedINS2_IJiiEEENS2_IJiNS_17integral_constantIiLi1EEEEEELb0EEENS_11PassThroughIiEESQ_NS_7UnMergeINS2_IJiNSL_IiLi8EEEEEELb0EEESQ_EEENS2_IJNS8_IJLi0EEEENS8_IJLi1EEEENS8_IJLi2EEEENS8_IJLi4EEEENS8_IJLi3EEEEEEENS2_IJNS8_IJLi1ELi2EEEES10_SZ_NS8_IJLi5ELi6EEEENS8_IJLi7EEEEEEENS8_IJLi5ELi7ELi6EEEElEES17_NS2_IJNSI_INS2_IJSO_SQ_SQ_NSR_INS2_IJiNSL_IiLi256EEEEEELb0EEENSR_INS2_IJiNSL_IiLi128EEEEEELb0EEEEEENS2_IJSW_SX_SY_S10_SZ_EEENS2_IJS12_S10_SZ_S13_NS8_IJLi7ELi8EEEEEEENS8_IJLi5ELi6ELi7ELi8EEEElEES1J_EEES1J_NS_31BlockToCTileMap_M00_N0_M01AdaptILi256ELi128ENSI_INS2_IJSO_SQ_SQ_EEENS2_IJSW_SX_SY_EEENS2_IJS12_S10_SZ_EEENS8_IJLi3ELi4EEEElEEiEELb0EEEvPKT0_PKT1_T2_PT3_T4_T5_T6_T7_T8_T9_T10_T11_.private_seg_size, 0
	.set _ZN2ck35kernel_gemm_multiple_d_xdl_cshuffleINS_34GridwiseGemmMultipleD_xdl_cshuffleIfffffNS_5TupleIJffEEEfNS_16tensor_operation12element_wise11PassThroughES6_NS5_14AddAddFastGeluELi1ELi256ELi256ELi128ELi32ELi8ELi8ELi16ELi16ELi8ELi2ENS_8SequenceIJLi4ELi64ELi1EEEENS8_IJLi1ELi0ELi2EEEESA_Li2ELi4ELi4ELb0ELi1ES9_SA_SA_Li2ELi4ELi4ELb0ELi1ELi1ELi1ENS8_IJLi1ELi32ELi1ELi8EEEELi2ELNS_13LoopSchedulerE0ELNS_15PipelineVersionE0EfLb0EEEffNS2_IJPKfSG_EEEfS6_S6_S7_NS_16TensorDescriptorINS2_IJNS_5EmbedINS2_IJiiEEENS2_IJiNS_17integral_constantIiLi1EEEEEELb0EEENS_11PassThroughIiEESQ_NS_7UnMergeINS2_IJiNSL_IiLi8EEEEEELb0EEESQ_EEENS2_IJNS8_IJLi0EEEENS8_IJLi1EEEENS8_IJLi2EEEENS8_IJLi4EEEENS8_IJLi3EEEEEEENS2_IJNS8_IJLi1ELi2EEEES10_SZ_NS8_IJLi5ELi6EEEENS8_IJLi7EEEEEEENS8_IJLi5ELi7ELi6EEEElEES17_NS2_IJNSI_INS2_IJSO_SQ_SQ_NSR_INS2_IJiNSL_IiLi256EEEEEELb0EEENSR_INS2_IJiNSL_IiLi128EEEEEELb0EEEEEENS2_IJSW_SX_SY_S10_SZ_EEENS2_IJS12_S10_SZ_S13_NS8_IJLi7ELi8EEEEEEENS8_IJLi5ELi6ELi7ELi8EEEElEES1J_EEES1J_NS_31BlockToCTileMap_M00_N0_M01AdaptILi256ELi128ENSI_INS2_IJSO_SQ_SQ_EEENS2_IJSW_SX_SY_EEENS2_IJS12_S10_SZ_EEENS8_IJLi3ELi4EEEElEEiEELb0EEEvPKT0_PKT1_T2_PT3_T4_T5_T6_T7_T8_T9_T10_T11_.uses_vcc, 0
	.set _ZN2ck35kernel_gemm_multiple_d_xdl_cshuffleINS_34GridwiseGemmMultipleD_xdl_cshuffleIfffffNS_5TupleIJffEEEfNS_16tensor_operation12element_wise11PassThroughES6_NS5_14AddAddFastGeluELi1ELi256ELi256ELi128ELi32ELi8ELi8ELi16ELi16ELi8ELi2ENS_8SequenceIJLi4ELi64ELi1EEEENS8_IJLi1ELi0ELi2EEEESA_Li2ELi4ELi4ELb0ELi1ES9_SA_SA_Li2ELi4ELi4ELb0ELi1ELi1ELi1ENS8_IJLi1ELi32ELi1ELi8EEEELi2ELNS_13LoopSchedulerE0ELNS_15PipelineVersionE0EfLb0EEEffNS2_IJPKfSG_EEEfS6_S6_S7_NS_16TensorDescriptorINS2_IJNS_5EmbedINS2_IJiiEEENS2_IJiNS_17integral_constantIiLi1EEEEEELb0EEENS_11PassThroughIiEESQ_NS_7UnMergeINS2_IJiNSL_IiLi8EEEEEELb0EEESQ_EEENS2_IJNS8_IJLi0EEEENS8_IJLi1EEEENS8_IJLi2EEEENS8_IJLi4EEEENS8_IJLi3EEEEEEENS2_IJNS8_IJLi1ELi2EEEES10_SZ_NS8_IJLi5ELi6EEEENS8_IJLi7EEEEEEENS8_IJLi5ELi7ELi6EEEElEES17_NS2_IJNSI_INS2_IJSO_SQ_SQ_NSR_INS2_IJiNSL_IiLi256EEEEEELb0EEENSR_INS2_IJiNSL_IiLi128EEEEEELb0EEEEEENS2_IJSW_SX_SY_S10_SZ_EEENS2_IJS12_S10_SZ_S13_NS8_IJLi7ELi8EEEEEEENS8_IJLi5ELi6ELi7ELi8EEEElEES1J_EEES1J_NS_31BlockToCTileMap_M00_N0_M01AdaptILi256ELi128ENSI_INS2_IJSO_SQ_SQ_EEENS2_IJSW_SX_SY_EEENS2_IJS12_S10_SZ_EEENS8_IJLi3ELi4EEEElEEiEELb0EEEvPKT0_PKT1_T2_PT3_T4_T5_T6_T7_T8_T9_T10_T11_.uses_flat_scratch, 0
	.set _ZN2ck35kernel_gemm_multiple_d_xdl_cshuffleINS_34GridwiseGemmMultipleD_xdl_cshuffleIfffffNS_5TupleIJffEEEfNS_16tensor_operation12element_wise11PassThroughES6_NS5_14AddAddFastGeluELi1ELi256ELi256ELi128ELi32ELi8ELi8ELi16ELi16ELi8ELi2ENS_8SequenceIJLi4ELi64ELi1EEEENS8_IJLi1ELi0ELi2EEEESA_Li2ELi4ELi4ELb0ELi1ES9_SA_SA_Li2ELi4ELi4ELb0ELi1ELi1ELi1ENS8_IJLi1ELi32ELi1ELi8EEEELi2ELNS_13LoopSchedulerE0ELNS_15PipelineVersionE0EfLb0EEEffNS2_IJPKfSG_EEEfS6_S6_S7_NS_16TensorDescriptorINS2_IJNS_5EmbedINS2_IJiiEEENS2_IJiNS_17integral_constantIiLi1EEEEEELb0EEENS_11PassThroughIiEESQ_NS_7UnMergeINS2_IJiNSL_IiLi8EEEEEELb0EEESQ_EEENS2_IJNS8_IJLi0EEEENS8_IJLi1EEEENS8_IJLi2EEEENS8_IJLi4EEEENS8_IJLi3EEEEEEENS2_IJNS8_IJLi1ELi2EEEES10_SZ_NS8_IJLi5ELi6EEEENS8_IJLi7EEEEEEENS8_IJLi5ELi7ELi6EEEElEES17_NS2_IJNSI_INS2_IJSO_SQ_SQ_NSR_INS2_IJiNSL_IiLi256EEEEEELb0EEENSR_INS2_IJiNSL_IiLi128EEEEEELb0EEEEEENS2_IJSW_SX_SY_S10_SZ_EEENS2_IJS12_S10_SZ_S13_NS8_IJLi7ELi8EEEEEEENS8_IJLi5ELi6ELi7ELi8EEEElEES1J_EEES1J_NS_31BlockToCTileMap_M00_N0_M01AdaptILi256ELi128ENSI_INS2_IJSO_SQ_SQ_EEENS2_IJSW_SX_SY_EEENS2_IJS12_S10_SZ_EEENS8_IJLi3ELi4EEEElEEiEELb0EEEvPKT0_PKT1_T2_PT3_T4_T5_T6_T7_T8_T9_T10_T11_.has_dyn_sized_stack, 0
	.set _ZN2ck35kernel_gemm_multiple_d_xdl_cshuffleINS_34GridwiseGemmMultipleD_xdl_cshuffleIfffffNS_5TupleIJffEEEfNS_16tensor_operation12element_wise11PassThroughES6_NS5_14AddAddFastGeluELi1ELi256ELi256ELi128ELi32ELi8ELi8ELi16ELi16ELi8ELi2ENS_8SequenceIJLi4ELi64ELi1EEEENS8_IJLi1ELi0ELi2EEEESA_Li2ELi4ELi4ELb0ELi1ES9_SA_SA_Li2ELi4ELi4ELb0ELi1ELi1ELi1ENS8_IJLi1ELi32ELi1ELi8EEEELi2ELNS_13LoopSchedulerE0ELNS_15PipelineVersionE0EfLb0EEEffNS2_IJPKfSG_EEEfS6_S6_S7_NS_16TensorDescriptorINS2_IJNS_5EmbedINS2_IJiiEEENS2_IJiNS_17integral_constantIiLi1EEEEEELb0EEENS_11PassThroughIiEESQ_NS_7UnMergeINS2_IJiNSL_IiLi8EEEEEELb0EEESQ_EEENS2_IJNS8_IJLi0EEEENS8_IJLi1EEEENS8_IJLi2EEEENS8_IJLi4EEEENS8_IJLi3EEEEEEENS2_IJNS8_IJLi1ELi2EEEES10_SZ_NS8_IJLi5ELi6EEEENS8_IJLi7EEEEEEENS8_IJLi5ELi7ELi6EEEElEES17_NS2_IJNSI_INS2_IJSO_SQ_SQ_NSR_INS2_IJiNSL_IiLi256EEEEEELb0EEENSR_INS2_IJiNSL_IiLi128EEEEEELb0EEEEEENS2_IJSW_SX_SY_S10_SZ_EEENS2_IJS12_S10_SZ_S13_NS8_IJLi7ELi8EEEEEEENS8_IJLi5ELi6ELi7ELi8EEEElEES1J_EEES1J_NS_31BlockToCTileMap_M00_N0_M01AdaptILi256ELi128ENSI_INS2_IJSO_SQ_SQ_EEENS2_IJSW_SX_SY_EEENS2_IJS12_S10_SZ_EEENS8_IJLi3ELi4EEEElEEiEELb0EEEvPKT0_PKT1_T2_PT3_T4_T5_T6_T7_T8_T9_T10_T11_.has_recursion, 0
	.set _ZN2ck35kernel_gemm_multiple_d_xdl_cshuffleINS_34GridwiseGemmMultipleD_xdl_cshuffleIfffffNS_5TupleIJffEEEfNS_16tensor_operation12element_wise11PassThroughES6_NS5_14AddAddFastGeluELi1ELi256ELi256ELi128ELi32ELi8ELi8ELi16ELi16ELi8ELi2ENS_8SequenceIJLi4ELi64ELi1EEEENS8_IJLi1ELi0ELi2EEEESA_Li2ELi4ELi4ELb0ELi1ES9_SA_SA_Li2ELi4ELi4ELb0ELi1ELi1ELi1ENS8_IJLi1ELi32ELi1ELi8EEEELi2ELNS_13LoopSchedulerE0ELNS_15PipelineVersionE0EfLb0EEEffNS2_IJPKfSG_EEEfS6_S6_S7_NS_16TensorDescriptorINS2_IJNS_5EmbedINS2_IJiiEEENS2_IJiNS_17integral_constantIiLi1EEEEEELb0EEENS_11PassThroughIiEESQ_NS_7UnMergeINS2_IJiNSL_IiLi8EEEEEELb0EEESQ_EEENS2_IJNS8_IJLi0EEEENS8_IJLi1EEEENS8_IJLi2EEEENS8_IJLi4EEEENS8_IJLi3EEEEEEENS2_IJNS8_IJLi1ELi2EEEES10_SZ_NS8_IJLi5ELi6EEEENS8_IJLi7EEEEEEENS8_IJLi5ELi7ELi6EEEElEES17_NS2_IJNSI_INS2_IJSO_SQ_SQ_NSR_INS2_IJiNSL_IiLi256EEEEEELb0EEENSR_INS2_IJiNSL_IiLi128EEEEEELb0EEEEEENS2_IJSW_SX_SY_S10_SZ_EEENS2_IJS12_S10_SZ_S13_NS8_IJLi7ELi8EEEEEEENS8_IJLi5ELi6ELi7ELi8EEEElEES1J_EEES1J_NS_31BlockToCTileMap_M00_N0_M01AdaptILi256ELi128ENSI_INS2_IJSO_SQ_SQ_EEENS2_IJSW_SX_SY_EEENS2_IJS12_S10_SZ_EEENS8_IJLi3ELi4EEEElEEiEELb0EEEvPKT0_PKT1_T2_PT3_T4_T5_T6_T7_T8_T9_T10_T11_.has_indirect_call, 0
	.section	.AMDGPU.csdata,"",@progbits
; Kernel info:
; codeLenInByte = 4
; TotalNumSgprs: 6
; NumVgprs: 0
; NumAgprs: 0
; TotalNumVgprs: 0
; ScratchSize: 0
; MemoryBound: 0
; FloatMode: 240
; IeeeMode: 1
; LDSByteSize: 0 bytes/workgroup (compile time only)
; SGPRBlocks: 0
; VGPRBlocks: 0
; NumSGPRsForWavesPerEU: 6
; NumVGPRsForWavesPerEU: 1
; AccumOffset: 4
; Occupancy: 8
; WaveLimiterHint : 0
; COMPUTE_PGM_RSRC2:SCRATCH_EN: 0
; COMPUTE_PGM_RSRC2:USER_SGPR: 2
; COMPUTE_PGM_RSRC2:TRAP_HANDLER: 0
; COMPUTE_PGM_RSRC2:TGID_X_EN: 1
; COMPUTE_PGM_RSRC2:TGID_Y_EN: 0
; COMPUTE_PGM_RSRC2:TGID_Z_EN: 0
; COMPUTE_PGM_RSRC2:TIDIG_COMP_CNT: 0
; COMPUTE_PGM_RSRC3_GFX90A:ACCUM_OFFSET: 0
; COMPUTE_PGM_RSRC3_GFX90A:TG_SPLIT: 0
	.section	.AMDGPU.gpr_maximums,"",@progbits
	.set amdgpu.max_num_vgpr, 0
	.set amdgpu.max_num_agpr, 0
	.set amdgpu.max_num_sgpr, 0
	.section	.AMDGPU.csdata,"",@progbits
	.type	__hip_cuid_8aa4ce8868a18914,@object ; @__hip_cuid_8aa4ce8868a18914
	.section	.bss,"aw",@nobits
	.globl	__hip_cuid_8aa4ce8868a18914
__hip_cuid_8aa4ce8868a18914:
	.byte	0                               ; 0x0
	.size	__hip_cuid_8aa4ce8868a18914, 1

	.ident	"AMD clang version 22.0.0git (https://github.com/RadeonOpenCompute/llvm-project roc-7.2.4 26084 f58b06dce1f9c15707c5f808fd002e18c2accf7e)"
	.section	".note.GNU-stack","",@progbits
	.addrsig
	.addrsig_sym __hip_cuid_8aa4ce8868a18914
	.amdgpu_metadata
---
amdhsa.kernels:
  - .agpr_count:     0
    .args:           []
    .group_segment_fixed_size: 0
    .kernarg_segment_align: 4
    .kernarg_segment_size: 0
    .language:       OpenCL C
    .language_version:
      - 2
      - 0
    .max_flat_workgroup_size: 1024
    .name:           _ZN2ckL12flush_icacheEv
    .private_segment_fixed_size: 0
    .sgpr_count:     6
    .sgpr_spill_count: 0
    .symbol:         _ZN2ckL12flush_icacheEv.kd
    .uniform_work_group_size: 1
    .uses_dynamic_stack: false
    .vgpr_count:     0
    .vgpr_spill_count: 0
    .wavefront_size: 64
  - .agpr_count:     0
    .args:
      - .actual_access:  read_only
        .address_space:  global
        .offset:         0
        .size:           8
        .value_kind:     global_buffer
      - .actual_access:  read_only
        .address_space:  global
        .offset:         8
        .size:           8
        .value_kind:     global_buffer
      - .offset:         16
        .size:           16
        .value_kind:     by_value
      - .actual_access:  write_only
        .address_space:  global
        .offset:         32
        .size:           8
        .value_kind:     global_buffer
      - .offset:         40
        .size:           1
        .value_kind:     by_value
      - .offset:         41
        .size:           1
        .value_kind:     by_value
      - .offset:         42
        .size:           1
        .value_kind:     by_value
      - .offset:         48
        .size:           56
        .value_kind:     by_value
      - .offset:         104
        .size:           56
        .value_kind:     by_value
      - .offset:         160
        .size:           128
        .value_kind:     by_value
      - .offset:         288
        .size:           64
        .value_kind:     by_value
      - .offset:         352
        .size:           12
        .value_kind:     by_value
    .group_segment_fixed_size: 49344
    .kernarg_segment_align: 8
    .kernarg_segment_size: 364
    .language:       OpenCL C
    .language_version:
      - 2
      - 0
    .max_flat_workgroup_size: 256
    .name:           _ZN2ck35kernel_gemm_multiple_d_xdl_cshuffleINS_34GridwiseGemmMultipleD_xdl_cshuffleIfffffNS_5TupleIJffEEEfNS_16tensor_operation12element_wise11PassThroughES6_NS5_14AddAddFastGeluELi1ELi256ELi256ELi128ELi32ELi8ELi8ELi16ELi16ELi8ELi4ENS_8SequenceIJLi4ELi64ELi1EEEENS8_IJLi1ELi0ELi2EEEESA_Li2ELi4ELi4ELb0ELi1ES9_SA_SA_Li2ELi4ELi4ELb0ELi1ELi1ELi1ENS8_IJLi1ELi32ELi1ELi8EEEELi2ELNS_13LoopSchedulerE0ELNS_15PipelineVersionE0EfLb0EEEffNS2_IJPKfSG_EEEfS6_S6_S7_NS_16TensorDescriptorINS2_IJNS_5EmbedINS2_IJiiEEENS2_IJiNS_17integral_constantIiLi1EEEEEELb0EEENS_11PassThroughIiEESQ_NS_7UnMergeINS2_IJiNSL_IiLi8EEEEEELb0EEESQ_EEENS2_IJNS8_IJLi0EEEENS8_IJLi1EEEENS8_IJLi2EEEENS8_IJLi4EEEENS8_IJLi3EEEEEEENS2_IJNS8_IJLi1ELi2EEEES10_SZ_NS8_IJLi5ELi6EEEENS8_IJLi7EEEEEEENS8_IJLi5ELi7ELi6EEEElEES17_NS2_IJNSI_INS2_IJSO_SQ_SQ_NSR_INS2_IJiNSL_IiLi256EEEEEELb0EEENSR_INS2_IJiNSL_IiLi128EEEEEELb0EEEEEENS2_IJSW_SX_SY_S10_SZ_EEENS2_IJS12_S10_SZ_S13_NS8_IJLi7ELi8EEEEEEENS8_IJLi5ELi6ELi7ELi8EEEElEES1J_EEES1J_NS_31BlockToCTileMap_M00_N0_M01AdaptILi256ELi128ENSI_INS2_IJSO_SQ_SQ_EEENS2_IJSW_SX_SY_EEENS2_IJS12_S10_SZ_EEENS8_IJLi3ELi4EEEElEEiEELb1EEEvPKT0_PKT1_T2_PT3_T4_T5_T6_T7_T8_T9_T10_T11_
    .private_segment_fixed_size: 24
    .sgpr_count:     40
    .sgpr_spill_count: 0
    .symbol:         _ZN2ck35kernel_gemm_multiple_d_xdl_cshuffleINS_34GridwiseGemmMultipleD_xdl_cshuffleIfffffNS_5TupleIJffEEEfNS_16tensor_operation12element_wise11PassThroughES6_NS5_14AddAddFastGeluELi1ELi256ELi256ELi128ELi32ELi8ELi8ELi16ELi16ELi8ELi4ENS_8SequenceIJLi4ELi64ELi1EEEENS8_IJLi1ELi0ELi2EEEESA_Li2ELi4ELi4ELb0ELi1ES9_SA_SA_Li2ELi4ELi4ELb0ELi1ELi1ELi1ENS8_IJLi1ELi32ELi1ELi8EEEELi2ELNS_13LoopSchedulerE0ELNS_15PipelineVersionE0EfLb0EEEffNS2_IJPKfSG_EEEfS6_S6_S7_NS_16TensorDescriptorINS2_IJNS_5EmbedINS2_IJiiEEENS2_IJiNS_17integral_constantIiLi1EEEEEELb0EEENS_11PassThroughIiEESQ_NS_7UnMergeINS2_IJiNSL_IiLi8EEEEEELb0EEESQ_EEENS2_IJNS8_IJLi0EEEENS8_IJLi1EEEENS8_IJLi2EEEENS8_IJLi4EEEENS8_IJLi3EEEEEEENS2_IJNS8_IJLi1ELi2EEEES10_SZ_NS8_IJLi5ELi6EEEENS8_IJLi7EEEEEEENS8_IJLi5ELi7ELi6EEEElEES17_NS2_IJNSI_INS2_IJSO_SQ_SQ_NSR_INS2_IJiNSL_IiLi256EEEEEELb0EEENSR_INS2_IJiNSL_IiLi128EEEEEELb0EEEEEENS2_IJSW_SX_SY_S10_SZ_EEENS2_IJS12_S10_SZ_S13_NS8_IJLi7ELi8EEEEEEENS8_IJLi5ELi6ELi7ELi8EEEElEES1J_EEES1J_NS_31BlockToCTileMap_M00_N0_M01AdaptILi256ELi128ENSI_INS2_IJSO_SQ_SQ_EEENS2_IJSW_SX_SY_EEENS2_IJS12_S10_SZ_EEENS8_IJLi3ELi4EEEElEEiEELb1EEEvPKT0_PKT1_T2_PT3_T4_T5_T6_T7_T8_T9_T10_T11_.kd
    .uniform_work_group_size: 1
    .uses_dynamic_stack: false
    .vgpr_count:     256
    .vgpr_spill_count: 5
    .wavefront_size: 64
  - .agpr_count:     0
    .args:
      - .actual_access:  read_only
        .address_space:  global
        .offset:         0
        .size:           8
        .value_kind:     global_buffer
      - .actual_access:  read_only
        .address_space:  global
        .offset:         8
        .size:           8
        .value_kind:     global_buffer
      - .offset:         16
        .size:           16
        .value_kind:     by_value
      - .actual_access:  write_only
        .address_space:  global
        .offset:         32
        .size:           8
        .value_kind:     global_buffer
      - .offset:         40
        .size:           1
        .value_kind:     by_value
      - .offset:         41
        .size:           1
        .value_kind:     by_value
      - .offset:         42
        .size:           1
        .value_kind:     by_value
      - .offset:         48
        .size:           56
        .value_kind:     by_value
      - .offset:         104
        .size:           56
        .value_kind:     by_value
      - .offset:         160
        .size:           128
        .value_kind:     by_value
      - .offset:         288
        .size:           64
        .value_kind:     by_value
      - .offset:         352
        .size:           12
        .value_kind:     by_value
    .group_segment_fixed_size: 49344
    .kernarg_segment_align: 8
    .kernarg_segment_size: 364
    .language:       OpenCL C
    .language_version:
      - 2
      - 0
    .max_flat_workgroup_size: 256
    .name:           _ZN2ck35kernel_gemm_multiple_d_xdl_cshuffleINS_34GridwiseGemmMultipleD_xdl_cshuffleIfffffNS_5TupleIJffEEEfNS_16tensor_operation12element_wise11PassThroughES6_NS5_14AddAddFastGeluELi1ELi256ELi256ELi128ELi32ELi8ELi8ELi16ELi16ELi8ELi4ENS_8SequenceIJLi4ELi64ELi1EEEENS8_IJLi1ELi0ELi2EEEESA_Li2ELi4ELi4ELb0ELi1ES9_SA_SA_Li2ELi4ELi4ELb0ELi1ELi1ELi1ENS8_IJLi1ELi32ELi1ELi8EEEELi2ELNS_13LoopSchedulerE0ELNS_15PipelineVersionE0EfLb0EEEffNS2_IJPKfSG_EEEfS6_S6_S7_NS_16TensorDescriptorINS2_IJNS_5EmbedINS2_IJiiEEENS2_IJiNS_17integral_constantIiLi1EEEEEELb0EEENS_11PassThroughIiEESQ_NS_7UnMergeINS2_IJiNSL_IiLi8EEEEEELb0EEESQ_EEENS2_IJNS8_IJLi0EEEENS8_IJLi1EEEENS8_IJLi2EEEENS8_IJLi4EEEENS8_IJLi3EEEEEEENS2_IJNS8_IJLi1ELi2EEEES10_SZ_NS8_IJLi5ELi6EEEENS8_IJLi7EEEEEEENS8_IJLi5ELi7ELi6EEEElEES17_NS2_IJNSI_INS2_IJSO_SQ_SQ_NSR_INS2_IJiNSL_IiLi256EEEEEELb0EEENSR_INS2_IJiNSL_IiLi128EEEEEELb0EEEEEENS2_IJSW_SX_SY_S10_SZ_EEENS2_IJS12_S10_SZ_S13_NS8_IJLi7ELi8EEEEEEENS8_IJLi5ELi6ELi7ELi8EEEElEES1J_EEES1J_NS_31BlockToCTileMap_M00_N0_M01AdaptILi256ELi128ENSI_INS2_IJSO_SQ_SQ_EEENS2_IJSW_SX_SY_EEENS2_IJS12_S10_SZ_EEENS8_IJLi3ELi4EEEElEEiEELb0EEEvPKT0_PKT1_T2_PT3_T4_T5_T6_T7_T8_T9_T10_T11_
    .private_segment_fixed_size: 0
    .sgpr_count:     33
    .sgpr_spill_count: 0
    .symbol:         _ZN2ck35kernel_gemm_multiple_d_xdl_cshuffleINS_34GridwiseGemmMultipleD_xdl_cshuffleIfffffNS_5TupleIJffEEEfNS_16tensor_operation12element_wise11PassThroughES6_NS5_14AddAddFastGeluELi1ELi256ELi256ELi128ELi32ELi8ELi8ELi16ELi16ELi8ELi4ENS_8SequenceIJLi4ELi64ELi1EEEENS8_IJLi1ELi0ELi2EEEESA_Li2ELi4ELi4ELb0ELi1ES9_SA_SA_Li2ELi4ELi4ELb0ELi1ELi1ELi1ENS8_IJLi1ELi32ELi1ELi8EEEELi2ELNS_13LoopSchedulerE0ELNS_15PipelineVersionE0EfLb0EEEffNS2_IJPKfSG_EEEfS6_S6_S7_NS_16TensorDescriptorINS2_IJNS_5EmbedINS2_IJiiEEENS2_IJiNS_17integral_constantIiLi1EEEEEELb0EEENS_11PassThroughIiEESQ_NS_7UnMergeINS2_IJiNSL_IiLi8EEEEEELb0EEESQ_EEENS2_IJNS8_IJLi0EEEENS8_IJLi1EEEENS8_IJLi2EEEENS8_IJLi4EEEENS8_IJLi3EEEEEEENS2_IJNS8_IJLi1ELi2EEEES10_SZ_NS8_IJLi5ELi6EEEENS8_IJLi7EEEEEEENS8_IJLi5ELi7ELi6EEEElEES17_NS2_IJNSI_INS2_IJSO_SQ_SQ_NSR_INS2_IJiNSL_IiLi256EEEEEELb0EEENSR_INS2_IJiNSL_IiLi128EEEEEELb0EEEEEENS2_IJSW_SX_SY_S10_SZ_EEENS2_IJS12_S10_SZ_S13_NS8_IJLi7ELi8EEEEEEENS8_IJLi5ELi6ELi7ELi8EEEElEES1J_EEES1J_NS_31BlockToCTileMap_M00_N0_M01AdaptILi256ELi128ENSI_INS2_IJSO_SQ_SQ_EEENS2_IJSW_SX_SY_EEENS2_IJS12_S10_SZ_EEENS8_IJLi3ELi4EEEElEEiEELb0EEEvPKT0_PKT1_T2_PT3_T4_T5_T6_T7_T8_T9_T10_T11_.kd
    .uniform_work_group_size: 1
    .uses_dynamic_stack: false
    .vgpr_count:     138
    .vgpr_spill_count: 0
    .wavefront_size: 64
  - .agpr_count:     0
    .args:
      - .actual_access:  read_only
        .address_space:  global
        .offset:         0
        .size:           8
        .value_kind:     global_buffer
      - .actual_access:  read_only
        .address_space:  global
        .offset:         8
        .size:           8
        .value_kind:     global_buffer
      - .offset:         16
        .size:           16
        .value_kind:     by_value
      - .actual_access:  read_only
        .address_space:  global
        .offset:         32
        .size:           8
        .value_kind:     global_buffer
      - .offset:         40
        .size:           1
        .value_kind:     by_value
      - .offset:         41
        .size:           1
        .value_kind:     by_value
      - .offset:         42
        .size:           1
        .value_kind:     by_value
      - .offset:         48
        .size:           56
        .value_kind:     by_value
      - .offset:         104
        .size:           56
        .value_kind:     by_value
      - .offset:         160
        .size:           128
        .value_kind:     by_value
      - .offset:         288
        .size:           64
        .value_kind:     by_value
      - .offset:         352
        .size:           12
        .value_kind:     by_value
    .group_segment_fixed_size: 0
    .kernarg_segment_align: 8
    .kernarg_segment_size: 364
    .language:       OpenCL C
    .language_version:
      - 2
      - 0
    .max_flat_workgroup_size: 256
    .name:           _ZN2ck35kernel_gemm_multiple_d_xdl_cshuffleINS_34GridwiseGemmMultipleD_xdl_cshuffleIfffffNS_5TupleIJffEEEfNS_16tensor_operation12element_wise11PassThroughES6_NS5_14AddAddFastGeluELi1ELi256ELi256ELi128ELi32ELi8ELi8ELi16ELi16ELi8ELi2ENS_8SequenceIJLi4ELi64ELi1EEEENS8_IJLi1ELi0ELi2EEEESA_Li2ELi4ELi4ELb0ELi1ES9_SA_SA_Li2ELi4ELi4ELb0ELi1ELi1ELi1ENS8_IJLi1ELi32ELi1ELi8EEEELi2ELNS_13LoopSchedulerE0ELNS_15PipelineVersionE0EfLb0EEEffNS2_IJPKfSG_EEEfS6_S6_S7_NS_16TensorDescriptorINS2_IJNS_5EmbedINS2_IJiiEEENS2_IJiNS_17integral_constantIiLi1EEEEEELb0EEENS_11PassThroughIiEESQ_NS_7UnMergeINS2_IJiNSL_IiLi8EEEEEELb0EEESQ_EEENS2_IJNS8_IJLi0EEEENS8_IJLi1EEEENS8_IJLi2EEEENS8_IJLi4EEEENS8_IJLi3EEEEEEENS2_IJNS8_IJLi1ELi2EEEES10_SZ_NS8_IJLi5ELi6EEEENS8_IJLi7EEEEEEENS8_IJLi5ELi7ELi6EEEElEES17_NS2_IJNSI_INS2_IJSO_SQ_SQ_NSR_INS2_IJiNSL_IiLi256EEEEEELb0EEENSR_INS2_IJiNSL_IiLi128EEEEEELb0EEEEEENS2_IJSW_SX_SY_S10_SZ_EEENS2_IJS12_S10_SZ_S13_NS8_IJLi7ELi8EEEEEEENS8_IJLi5ELi6ELi7ELi8EEEElEES1J_EEES1J_NS_31BlockToCTileMap_M00_N0_M01AdaptILi256ELi128ENSI_INS2_IJSO_SQ_SQ_EEENS2_IJSW_SX_SY_EEENS2_IJS12_S10_SZ_EEENS8_IJLi3ELi4EEEElEEiEELb1EEEvPKT0_PKT1_T2_PT3_T4_T5_T6_T7_T8_T9_T10_T11_
    .private_segment_fixed_size: 0
    .sgpr_count:     6
    .sgpr_spill_count: 0
    .symbol:         _ZN2ck35kernel_gemm_multiple_d_xdl_cshuffleINS_34GridwiseGemmMultipleD_xdl_cshuffleIfffffNS_5TupleIJffEEEfNS_16tensor_operation12element_wise11PassThroughES6_NS5_14AddAddFastGeluELi1ELi256ELi256ELi128ELi32ELi8ELi8ELi16ELi16ELi8ELi2ENS_8SequenceIJLi4ELi64ELi1EEEENS8_IJLi1ELi0ELi2EEEESA_Li2ELi4ELi4ELb0ELi1ES9_SA_SA_Li2ELi4ELi4ELb0ELi1ELi1ELi1ENS8_IJLi1ELi32ELi1ELi8EEEELi2ELNS_13LoopSchedulerE0ELNS_15PipelineVersionE0EfLb0EEEffNS2_IJPKfSG_EEEfS6_S6_S7_NS_16TensorDescriptorINS2_IJNS_5EmbedINS2_IJiiEEENS2_IJiNS_17integral_constantIiLi1EEEEEELb0EEENS_11PassThroughIiEESQ_NS_7UnMergeINS2_IJiNSL_IiLi8EEEEEELb0EEESQ_EEENS2_IJNS8_IJLi0EEEENS8_IJLi1EEEENS8_IJLi2EEEENS8_IJLi4EEEENS8_IJLi3EEEEEEENS2_IJNS8_IJLi1ELi2EEEES10_SZ_NS8_IJLi5ELi6EEEENS8_IJLi7EEEEEEENS8_IJLi5ELi7ELi6EEEElEES17_NS2_IJNSI_INS2_IJSO_SQ_SQ_NSR_INS2_IJiNSL_IiLi256EEEEEELb0EEENSR_INS2_IJiNSL_IiLi128EEEEEELb0EEEEEENS2_IJSW_SX_SY_S10_SZ_EEENS2_IJS12_S10_SZ_S13_NS8_IJLi7ELi8EEEEEEENS8_IJLi5ELi6ELi7ELi8EEEElEES1J_EEES1J_NS_31BlockToCTileMap_M00_N0_M01AdaptILi256ELi128ENSI_INS2_IJSO_SQ_SQ_EEENS2_IJSW_SX_SY_EEENS2_IJS12_S10_SZ_EEENS8_IJLi3ELi4EEEElEEiEELb1EEEvPKT0_PKT1_T2_PT3_T4_T5_T6_T7_T8_T9_T10_T11_.kd
    .uniform_work_group_size: 1
    .uses_dynamic_stack: false
    .vgpr_count:     0
    .vgpr_spill_count: 0
    .wavefront_size: 64
  - .agpr_count:     0
    .args:
      - .actual_access:  read_only
        .address_space:  global
        .offset:         0
        .size:           8
        .value_kind:     global_buffer
      - .actual_access:  read_only
        .address_space:  global
        .offset:         8
        .size:           8
        .value_kind:     global_buffer
      - .offset:         16
        .size:           16
        .value_kind:     by_value
      - .actual_access:  read_only
        .address_space:  global
        .offset:         32
        .size:           8
        .value_kind:     global_buffer
      - .offset:         40
        .size:           1
        .value_kind:     by_value
      - .offset:         41
        .size:           1
        .value_kind:     by_value
      - .offset:         42
        .size:           1
        .value_kind:     by_value
      - .offset:         48
        .size:           56
        .value_kind:     by_value
      - .offset:         104
        .size:           56
        .value_kind:     by_value
      - .offset:         160
        .size:           128
        .value_kind:     by_value
      - .offset:         288
        .size:           64
        .value_kind:     by_value
      - .offset:         352
        .size:           12
        .value_kind:     by_value
    .group_segment_fixed_size: 0
    .kernarg_segment_align: 8
    .kernarg_segment_size: 364
    .language:       OpenCL C
    .language_version:
      - 2
      - 0
    .max_flat_workgroup_size: 256
    .name:           _ZN2ck35kernel_gemm_multiple_d_xdl_cshuffleINS_34GridwiseGemmMultipleD_xdl_cshuffleIfffffNS_5TupleIJffEEEfNS_16tensor_operation12element_wise11PassThroughES6_NS5_14AddAddFastGeluELi1ELi256ELi256ELi128ELi32ELi8ELi8ELi16ELi16ELi8ELi2ENS_8SequenceIJLi4ELi64ELi1EEEENS8_IJLi1ELi0ELi2EEEESA_Li2ELi4ELi4ELb0ELi1ES9_SA_SA_Li2ELi4ELi4ELb0ELi1ELi1ELi1ENS8_IJLi1ELi32ELi1ELi8EEEELi2ELNS_13LoopSchedulerE0ELNS_15PipelineVersionE0EfLb0EEEffNS2_IJPKfSG_EEEfS6_S6_S7_NS_16TensorDescriptorINS2_IJNS_5EmbedINS2_IJiiEEENS2_IJiNS_17integral_constantIiLi1EEEEEELb0EEENS_11PassThroughIiEESQ_NS_7UnMergeINS2_IJiNSL_IiLi8EEEEEELb0EEESQ_EEENS2_IJNS8_IJLi0EEEENS8_IJLi1EEEENS8_IJLi2EEEENS8_IJLi4EEEENS8_IJLi3EEEEEEENS2_IJNS8_IJLi1ELi2EEEES10_SZ_NS8_IJLi5ELi6EEEENS8_IJLi7EEEEEEENS8_IJLi5ELi7ELi6EEEElEES17_NS2_IJNSI_INS2_IJSO_SQ_SQ_NSR_INS2_IJiNSL_IiLi256EEEEEELb0EEENSR_INS2_IJiNSL_IiLi128EEEEEELb0EEEEEENS2_IJSW_SX_SY_S10_SZ_EEENS2_IJS12_S10_SZ_S13_NS8_IJLi7ELi8EEEEEEENS8_IJLi5ELi6ELi7ELi8EEEElEES1J_EEES1J_NS_31BlockToCTileMap_M00_N0_M01AdaptILi256ELi128ENSI_INS2_IJSO_SQ_SQ_EEENS2_IJSW_SX_SY_EEENS2_IJS12_S10_SZ_EEENS8_IJLi3ELi4EEEElEEiEELb0EEEvPKT0_PKT1_T2_PT3_T4_T5_T6_T7_T8_T9_T10_T11_
    .private_segment_fixed_size: 0
    .sgpr_count:     6
    .sgpr_spill_count: 0
    .symbol:         _ZN2ck35kernel_gemm_multiple_d_xdl_cshuffleINS_34GridwiseGemmMultipleD_xdl_cshuffleIfffffNS_5TupleIJffEEEfNS_16tensor_operation12element_wise11PassThroughES6_NS5_14AddAddFastGeluELi1ELi256ELi256ELi128ELi32ELi8ELi8ELi16ELi16ELi8ELi2ENS_8SequenceIJLi4ELi64ELi1EEEENS8_IJLi1ELi0ELi2EEEESA_Li2ELi4ELi4ELb0ELi1ES9_SA_SA_Li2ELi4ELi4ELb0ELi1ELi1ELi1ENS8_IJLi1ELi32ELi1ELi8EEEELi2ELNS_13LoopSchedulerE0ELNS_15PipelineVersionE0EfLb0EEEffNS2_IJPKfSG_EEEfS6_S6_S7_NS_16TensorDescriptorINS2_IJNS_5EmbedINS2_IJiiEEENS2_IJiNS_17integral_constantIiLi1EEEEEELb0EEENS_11PassThroughIiEESQ_NS_7UnMergeINS2_IJiNSL_IiLi8EEEEEELb0EEESQ_EEENS2_IJNS8_IJLi0EEEENS8_IJLi1EEEENS8_IJLi2EEEENS8_IJLi4EEEENS8_IJLi3EEEEEEENS2_IJNS8_IJLi1ELi2EEEES10_SZ_NS8_IJLi5ELi6EEEENS8_IJLi7EEEEEEENS8_IJLi5ELi7ELi6EEEElEES17_NS2_IJNSI_INS2_IJSO_SQ_SQ_NSR_INS2_IJiNSL_IiLi256EEEEEELb0EEENSR_INS2_IJiNSL_IiLi128EEEEEELb0EEEEEENS2_IJSW_SX_SY_S10_SZ_EEENS2_IJS12_S10_SZ_S13_NS8_IJLi7ELi8EEEEEEENS8_IJLi5ELi6ELi7ELi8EEEElEES1J_EEES1J_NS_31BlockToCTileMap_M00_N0_M01AdaptILi256ELi128ENSI_INS2_IJSO_SQ_SQ_EEENS2_IJSW_SX_SY_EEENS2_IJS12_S10_SZ_EEENS8_IJLi3ELi4EEEElEEiEELb0EEEvPKT0_PKT1_T2_PT3_T4_T5_T6_T7_T8_T9_T10_T11_.kd
    .uniform_work_group_size: 1
    .uses_dynamic_stack: false
    .vgpr_count:     0
    .vgpr_spill_count: 0
    .wavefront_size: 64
amdhsa.target:   amdgcn-amd-amdhsa--gfx950
amdhsa.version:
  - 1
  - 2
...

	.end_amdgpu_metadata
